;; amdgpu-corpus repo=ROCm/rocFFT kind=compiled arch=gfx906 opt=O3
	.text
	.amdgcn_target "amdgcn-amd-amdhsa--gfx906"
	.amdhsa_code_object_version 6
	.protected	fft_rtc_fwd_len289_factors_17_17_wgs_119_tpt_17_half_op_CI_CI_sbrc_aligned ; -- Begin function fft_rtc_fwd_len289_factors_17_17_wgs_119_tpt_17_half_op_CI_CI_sbrc_aligned
	.globl	fft_rtc_fwd_len289_factors_17_17_wgs_119_tpt_17_half_op_CI_CI_sbrc_aligned
	.p2align	8
	.type	fft_rtc_fwd_len289_factors_17_17_wgs_119_tpt_17_half_op_CI_CI_sbrc_aligned,@function
fft_rtc_fwd_len289_factors_17_17_wgs_119_tpt_17_half_op_CI_CI_sbrc_aligned: ; @fft_rtc_fwd_len289_factors_17_17_wgs_119_tpt_17_half_op_CI_CI_sbrc_aligned
; %bb.0:
	s_load_dwordx8 s[8:15], s[4:5], 0x0
	s_mov_b32 s30, 0
	s_mov_b64 s[36:37], 2
	s_waitcnt lgkmcnt(0)
	s_load_dword s0, s[12:13], 0x8
	s_load_dwordx4 s[20:23], s[4:5], 0x58
	s_load_dwordx2 s[28:29], s[4:5], 0x20
	s_load_dwordx4 s[24:27], s[14:15], 0x0
	s_mov_b32 s5, s30
	s_waitcnt lgkmcnt(0)
	s_add_i32 s0, s0, -1
	s_mul_hi_u32 s1, s0, 0x24924925
	s_sub_i32 s0, s0, s1
	s_lshr_b32 s0, s0, 1
	s_add_i32 s0, s0, s1
	s_lshr_b32 s0, s0, 2
	s_add_i32 s33, s0, 1
	v_cvt_f32_u32_e32 v1, s33
	s_sub_i32 s2, 0, s33
	s_load_dwordx4 s[16:19], s[28:29], 0x0
	v_cmp_gt_u64_e64 s[0:1], s[10:11], 2
	v_rcp_iflag_f32_e32 v1, v1
	v_mul_f32_e32 v1, 0x4f7ffffe, v1
	v_cvt_u32_f32_e32 v1, v1
	v_readfirstlane_b32 s3, v1
	s_mul_i32 s2, s2, s3
	s_mul_hi_u32 s2, s3, s2
	s_add_i32 s3, s3, s2
	s_mul_hi_u32 s2, s6, s3
	s_mul_i32 s3, s2, s33
	s_sub_i32 s3, s6, s3
	s_add_i32 s4, s2, 1
	s_sub_i32 s7, s3, s33
	s_cmp_ge_u32 s3, s33
	s_cselect_b32 s2, s4, s2
	s_cselect_b32 s3, s7, s3
	s_add_i32 s4, s2, 1
	s_cmp_ge_u32 s3, s33
	s_cselect_b32 s7, s4, s2
	s_and_b64 vcc, exec, s[0:1]
	s_mul_i32 s0, s7, s33
	s_waitcnt lgkmcnt(0)
	s_sub_i32 s19, s6, s0
	s_mul_i32 s19, s19, 7
	s_mul_i32 s0, s17, s19
	s_mul_hi_u32 s1, s16, s19
	s_mul_i32 s4, s19, s26
	s_mul_i32 s2, s16, s19
	s_add_i32 s3, s1, s0
	s_cbranch_vccz .LBB0_9
; %bb.1:
	v_mov_b32_e32 v1, s10
	s_mov_b32 s34, 3
	v_mov_b32_e32 v2, s11
.LBB0_2:                                ; =>This Inner Loop Header: Depth=1
	s_lshl_b64 s[36:37], s[36:37], 3
	s_add_u32 s0, s12, s36
	s_addc_u32 s1, s13, s37
	s_load_dwordx2 s[38:39], s[0:1], 0x0
	s_waitcnt lgkmcnt(0)
	s_mov_b32 s31, s39
	s_cmp_lg_u64 s[30:31], 0
	s_cbranch_scc0 .LBB0_7
; %bb.3:                                ;   in Loop: Header=BB0_2 Depth=1
	v_cvt_f32_u32_e32 v3, s38
	v_cvt_f32_u32_e32 v4, s39
	s_sub_u32 s0, 0, s38
	s_subb_u32 s1, 0, s39
	v_mac_f32_e32 v3, 0x4f800000, v4
	v_rcp_f32_e32 v3, v3
	v_mul_f32_e32 v3, 0x5f7ffffc, v3
	v_mul_f32_e32 v4, 0x2f800000, v3
	v_trunc_f32_e32 v4, v4
	v_mac_f32_e32 v3, 0xcf800000, v4
	v_cvt_u32_f32_e32 v4, v4
	v_cvt_u32_f32_e32 v3, v3
	v_readfirstlane_b32 s27, v4
	v_readfirstlane_b32 s31, v3
	s_mul_i32 s35, s0, s27
	s_mul_hi_u32 s41, s0, s31
	s_mul_i32 s40, s1, s31
	s_add_i32 s35, s41, s35
	s_mul_i32 s42, s0, s31
	s_add_i32 s35, s35, s40
	s_mul_hi_u32 s40, s31, s35
	s_mul_i32 s41, s31, s35
	s_mul_hi_u32 s31, s31, s42
	s_add_u32 s31, s31, s41
	s_addc_u32 s40, 0, s40
	s_mul_hi_u32 s43, s27, s42
	s_mul_i32 s42, s27, s42
	s_add_u32 s31, s31, s42
	s_mul_hi_u32 s41, s27, s35
	s_addc_u32 s31, s40, s43
	s_addc_u32 s40, s41, 0
	s_mul_i32 s35, s27, s35
	s_add_u32 s31, s31, s35
	s_addc_u32 s35, 0, s40
	v_add_co_u32_e32 v3, vcc, s31, v3
	s_cmp_lg_u64 vcc, 0
	s_addc_u32 s27, s27, s35
	v_readfirstlane_b32 s35, v3
	s_mul_i32 s31, s0, s27
	s_mul_hi_u32 s40, s0, s35
	s_add_i32 s31, s40, s31
	s_mul_i32 s1, s1, s35
	s_add_i32 s31, s31, s1
	s_mul_i32 s0, s0, s35
	s_mul_hi_u32 s40, s27, s0
	s_mul_i32 s41, s27, s0
	s_mul_i32 s43, s35, s31
	s_mul_hi_u32 s0, s35, s0
	s_mul_hi_u32 s42, s35, s31
	s_add_u32 s0, s0, s43
	s_addc_u32 s35, 0, s42
	s_add_u32 s0, s0, s41
	s_mul_hi_u32 s1, s27, s31
	s_addc_u32 s0, s35, s40
	s_addc_u32 s1, s1, 0
	s_mul_i32 s31, s27, s31
	s_add_u32 s0, s0, s31
	s_addc_u32 s1, 0, s1
	v_add_co_u32_e32 v3, vcc, s0, v3
	s_cmp_lg_u64 vcc, 0
	s_addc_u32 s0, s27, s1
	v_readfirstlane_b32 s27, v3
	s_mul_hi_u32 s1, s7, s0
	s_mul_i32 s0, s7, s0
	s_mul_hi_u32 s27, s7, s27
	s_add_u32 s0, s27, s0
	s_addc_u32 s27, 0, s1
	s_mul_i32 s0, s39, s27
	s_mul_hi_u32 s1, s38, s27
	s_add_i32 s31, s1, s0
	s_mul_i32 s1, s38, s27
	v_mov_b32_e32 v3, s1
	s_sub_i32 s0, 0, s31
	v_sub_co_u32_e32 v3, vcc, s7, v3
	s_cmp_lg_u64 vcc, 0
	s_subb_u32 s35, s0, s39
	v_subrev_co_u32_e64 v4, s[0:1], s38, v3
	s_cmp_lg_u64 s[0:1], 0
	s_subb_u32 s0, s35, 0
	s_cmp_ge_u32 s0, s39
	v_readfirstlane_b32 s35, v4
	s_cselect_b32 s1, -1, 0
	s_cmp_ge_u32 s35, s38
	s_cselect_b32 s35, -1, 0
	s_cmp_eq_u32 s0, s39
	s_cselect_b32 s0, s35, s1
	s_add_u32 s1, s27, 1
	s_addc_u32 s35, 0, 0
	s_add_u32 s40, s27, 2
	s_addc_u32 s41, 0, 0
	s_cmp_lg_u32 s0, 0
	s_cselect_b32 s0, s40, s1
	s_cselect_b32 s1, s41, s35
	s_cmp_lg_u64 vcc, 0
	s_subb_u32 s31, 0, s31
	s_cmp_ge_u32 s31, s39
	v_readfirstlane_b32 s40, v3
	s_cselect_b32 s35, -1, 0
	s_cmp_ge_u32 s40, s38
	s_cselect_b32 s40, -1, 0
	s_cmp_eq_u32 s31, s39
	s_cselect_b32 s31, s40, s35
	s_cmp_lg_u32 s31, 0
	s_cselect_b32 s1, s1, 0
	s_cselect_b32 s0, s0, s27
	s_cbranch_execnz .LBB0_5
.LBB0_4:                                ;   in Loop: Header=BB0_2 Depth=1
	v_cvt_f32_u32_e32 v3, s38
	s_sub_i32 s0, 0, s38
	v_rcp_iflag_f32_e32 v3, v3
	v_mul_f32_e32 v3, 0x4f7ffffe, v3
	v_cvt_u32_f32_e32 v3, v3
	v_readfirstlane_b32 s1, v3
	s_mul_i32 s0, s0, s1
	s_mul_hi_u32 s0, s1, s0
	s_add_i32 s1, s1, s0
	s_mul_hi_u32 s0, s7, s1
	s_mul_i32 s27, s0, s38
	s_sub_i32 s27, s7, s27
	s_add_i32 s1, s0, 1
	s_sub_i32 s31, s27, s38
	s_cmp_ge_u32 s27, s38
	s_cselect_b32 s0, s1, s0
	s_cselect_b32 s27, s31, s27
	s_add_i32 s1, s0, 1
	s_cmp_ge_u32 s27, s38
	s_cselect_b32 s0, s1, s0
	s_mov_b32 s1, s30
.LBB0_5:                                ;   in Loop: Header=BB0_2 Depth=1
	s_mul_i32 s27, s0, s39
	s_mul_hi_u32 s31, s0, s38
	s_add_i32 s27, s31, s27
	s_mul_i32 s1, s1, s38
	s_add_i32 s27, s27, s1
	s_mul_i32 s1, s0, s38
	s_sub_u32 s1, s7, s1
	s_subb_u32 s7, 0, s27
	s_add_u32 s40, s14, s36
	s_addc_u32 s41, s15, s37
	s_load_dwordx2 s[40:41], s[40:41], 0x0
	s_mov_b32 s35, s30
	v_cmp_ge_u64_e32 vcc, s[34:35], v[1:2]
	s_mul_i32 s33, s33, s38
	s_waitcnt lgkmcnt(0)
	s_mul_i32 s27, s40, s7
	s_mul_hi_u32 s31, s40, s1
	s_add_i32 s27, s31, s27
	s_mul_i32 s31, s41, s1
	s_add_i32 s27, s27, s31
	s_mul_i32 s31, s40, s1
	s_add_u32 s4, s31, s4
	s_addc_u32 s5, s27, s5
	s_add_u32 s36, s28, s36
	s_addc_u32 s37, s29, s37
	s_load_dwordx2 s[36:37], s[36:37], 0x0
	s_waitcnt lgkmcnt(0)
	s_mul_i32 s7, s36, s7
	s_mul_hi_u32 s27, s36, s1
	s_add_i32 s7, s27, s7
	s_mul_i32 s27, s37, s1
	s_add_i32 s7, s7, s27
	s_mul_i32 s1, s36, s1
	s_add_u32 s2, s1, s2
	s_addc_u32 s3, s7, s3
	s_mov_b64 s[36:37], s[34:35]
	s_add_i32 s34, s34, 1
	s_cbranch_vccnz .LBB0_8
; %bb.6:                                ;   in Loop: Header=BB0_2 Depth=1
	s_mov_b32 s7, s0
	s_branch .LBB0_2
.LBB0_7:                                ;   in Loop: Header=BB0_2 Depth=1
                                        ; implicit-def: $sgpr0_sgpr1
	s_branch .LBB0_4
.LBB0_8:
	v_cvt_f32_u32_e32 v1, s33
	s_sub_i32 s0, 0, s33
	v_rcp_iflag_f32_e32 v1, v1
	v_mul_f32_e32 v1, 0x4f7ffffe, v1
	v_cvt_u32_f32_e32 v1, v1
	v_readfirstlane_b32 s1, v1
	s_mul_i32 s0, s0, s1
	s_mul_hi_u32 s0, s1, s0
	s_add_i32 s1, s1, s0
	s_mul_hi_u32 s0, s6, s1
	s_mul_i32 s1, s0, s33
	s_sub_i32 s1, s6, s1
	s_add_i32 s7, s0, 1
	s_sub_i32 s6, s1, s33
	s_cmp_ge_u32 s1, s33
	s_cselect_b32 s0, s7, s0
	s_cselect_b32 s1, s6, s1
	s_add_i32 s6, s0, 1
	s_cmp_ge_u32 s1, s33
	s_cselect_b32 s7, s6, s0
.LBB0_9:
	s_lshl_b64 s[0:1], s[10:11], 3
	s_add_u32 s10, s14, s0
	s_addc_u32 s11, s15, s1
	s_load_dwordx2 s[10:11], s[10:11], 0x0
	v_mad_u64_u32 v[1:2], s[12:13], s24, v0, 0
	v_add_u32_e32 v7, 0x77, v0
	s_mov_b32 s14, 0xbacd
	s_waitcnt lgkmcnt(0)
	s_mul_i32 s6, s11, s7
	s_mul_hi_u32 s11, s10, s7
	s_add_i32 s11, s11, s6
	s_add_u32 s0, s28, s0
	s_addc_u32 s1, s29, s1
	s_load_dwordx2 s[0:1], s[0:1], 0x0
	s_mul_i32 s10, s10, s7
	s_lshl_b64 s[10:11], s[10:11], 2
	v_mad_u64_u32 v[2:3], s[12:13], s25, v0, v[2:3]
	s_waitcnt lgkmcnt(0)
	s_mul_i32 s1, s1, s7
	s_mul_hi_u32 s6, s0, s7
	s_add_i32 s1, s6, s1
	s_add_u32 s6, s20, s10
	s_addc_u32 s10, s21, s11
	s_lshl_b64 s[4:5], s[4:5], 2
	s_add_u32 s4, s6, s4
	s_addc_u32 s5, s10, s5
	v_mad_u64_u32 v[3:4], s[10:11], s24, v7, 0
	v_lshlrev_b64 v[1:2], 2, v[1:2]
	v_mov_b32_e32 v6, s5
	v_add_co_u32_e32 v5, vcc, s4, v1
	v_mov_b32_e32 v1, v4
	v_addc_co_u32_e32 v6, vcc, v6, v2, vcc
	v_mad_u64_u32 v[1:2], s[10:11], s25, v7, v[1:2]
	v_add_u32_e32 v2, 0xee, v0
	v_mul_u32_u24_e32 v4, 0xe3, v2
	v_lshrrev_b32_e32 v11, 16, v4
	v_mul_lo_u16_e32 v4, 0x121, v11
	v_sub_u16_e32 v9, v2, v4
	v_mad_u64_u32 v[7:8], s[10:11], s24, v9, 0
	v_mov_b32_e32 v4, v1
	v_lshlrev_b64 v[1:2], 2, v[3:4]
	v_mov_b32_e32 v3, v8
	v_mad_u64_u32 v[3:4], s[10:11], s25, v9, v[3:4]
	v_add_co_u32_e32 v9, vcc, s4, v1
	v_mov_b32_e32 v8, v3
	v_lshlrev_b64 v[3:4], 2, v[7:8]
	v_add_u32_e32 v7, 0x165, v0
	v_mul_u32_u24_e32 v8, 0xe3, v7
	v_lshrrev_b32_e32 v13, 16, v8
	v_mul_lo_u16_e32 v8, 0x121, v13
	v_sub_u16_e32 v12, v7, v8
	v_mul_lo_u32 v1, s26, v11
	v_mad_u64_u32 v[7:8], s[10:11], s24, v12, 0
	v_mov_b32_e32 v10, s5
	v_addc_co_u32_e32 v10, vcc, v10, v2, vcc
	v_mov_b32_e32 v2, 0
	v_mov_b32_e32 v11, s5
	v_add_co_u32_e32 v14, vcc, s4, v3
	v_addc_co_u32_e32 v15, vcc, v11, v4, vcc
	v_lshlrev_b64 v[3:4], 2, v[1:2]
	v_mov_b32_e32 v1, v8
	v_mad_u64_u32 v[11:12], s[10:11], s25, v12, v[1:2]
	v_add_co_u32_e32 v3, vcc, v14, v3
	v_mov_b32_e32 v8, v11
	v_add_u32_e32 v11, 0x1dc, v0
	v_mul_u32_u24_e32 v12, 0xe3, v11
	v_lshrrev_b32_e32 v14, 16, v12
	v_mul_lo_u16_e32 v12, 0x121, v14
	v_addc_co_u32_e32 v4, vcc, v15, v4, vcc
	v_sub_u16_e32 v15, v11, v12
	v_mul_lo_u32 v1, s26, v13
	v_mad_u64_u32 v[11:12], s[10:11], s24, v15, 0
	v_lshlrev_b64 v[7:8], 2, v[7:8]
	v_mov_b32_e32 v13, s5
	v_add_co_u32_e32 v16, vcc, s4, v7
	v_addc_co_u32_e32 v17, vcc, v13, v8, vcc
	v_lshlrev_b64 v[7:8], 2, v[1:2]
	v_mov_b32_e32 v1, v12
	v_mad_u64_u32 v[12:13], s[10:11], s25, v15, v[1:2]
	v_add_u32_e32 v13, 0x253, v0
	v_mul_lo_u32 v1, s26, v14
	v_mul_u32_u24_e32 v14, 0xe3, v13
	v_add_co_u32_e32 v7, vcc, v16, v7
	v_lshrrev_b32_e32 v16, 16, v14
	v_mul_lo_u16_e32 v14, 0x121, v16
	v_addc_co_u32_e32 v8, vcc, v17, v8, vcc
	v_sub_u16_e32 v17, v13, v14
	v_mad_u64_u32 v[13:14], s[10:11], s24, v17, 0
	v_lshlrev_b64 v[11:12], 2, v[11:12]
	v_mov_b32_e32 v15, s5
	v_add_co_u32_e32 v18, vcc, s4, v11
	v_addc_co_u32_e32 v19, vcc, v15, v12, vcc
	v_lshlrev_b64 v[11:12], 2, v[1:2]
	v_mov_b32_e32 v1, v14
	v_mad_u64_u32 v[14:15], s[10:11], s25, v17, v[1:2]
	v_add_u32_e32 v15, 0x2ca, v0
	v_mul_lo_u32 v1, s26, v16
	v_mul_u32_u24_e32 v16, 0xe3, v15
	v_add_co_u32_e32 v11, vcc, v18, v11
	v_lshrrev_b32_e32 v18, 16, v16
	v_mul_lo_u16_e32 v16, 0x121, v18
	v_addc_co_u32_e32 v12, vcc, v19, v12, vcc
	v_sub_u16_e32 v19, v15, v16
	;; [unrolled: 16-line block ×11, first 2 shown]
	v_mad_u64_u32 v[33:34], s[10:11], s24, v37, 0
	v_lshlrev_b64 v[31:32], 2, v[31:32]
	v_mov_b32_e32 v35, s5
	v_add_co_u32_e32 v38, vcc, s4, v31
	v_addc_co_u32_e32 v39, vcc, v35, v32, vcc
	v_lshlrev_b64 v[31:32], 2, v[1:2]
	v_mov_b32_e32 v1, v34
	v_mad_u64_u32 v[34:35], s[10:11], s25, v37, v[1:2]
	v_mul_lo_u32 v1, s26, v36
	v_add_co_u32_e32 v31, vcc, v38, v31
	v_lshlrev_b64 v[33:34], 2, v[33:34]
	v_addc_co_u32_e32 v32, vcc, v39, v32, vcc
	v_mov_b32_e32 v35, s5
	v_add_co_u32_e32 v36, vcc, s4, v33
	v_addc_co_u32_e32 v35, vcc, v35, v34, vcc
	v_lshlrev_b64 v[33:34], 2, v[1:2]
	v_add_u32_e32 v1, 0x770, v0
	v_add_co_u32_e32 v33, vcc, v36, v33
	v_addc_co_u32_e32 v34, vcc, v35, v34, vcc
	v_mul_u32_u24_e32 v35, 0x717, v1
	v_lshrrev_b32_e32 v37, 19, v35
	v_mul_lo_u16_e32 v35, 0x121, v37
	v_sub_u16_e32 v38, v1, v35
	v_mad_u64_u32 v[35:36], s[10:11], s24, v38, 0
	global_load_dword v39, v[5:6], off
	global_load_dword v40, v[9:10], off
	global_load_dword v41, v[3:4], off
	global_load_dword v42, v[7:8], off
	global_load_dword v43, v[11:12], off
	global_load_dword v44, v[13:14], off
	global_load_dword v45, v[15:16], off
	global_load_dword v46, v[17:18], off
	v_mov_b32_e32 v13, s5
	v_mov_b32_e32 v1, v36
	v_mad_u64_u32 v[3:4], s[10:11], s25, v38, v[1:2]
	v_mul_lo_u32 v1, s26, v37
	global_load_dword v5, v[19:20], off
	global_load_dword v6, v[21:22], off
	;; [unrolled: 1-line block ×8, first 2 shown]
	v_mov_b32_e32 v36, v3
	v_lshlrev_b64 v[3:4], 2, v[35:36]
	s_movk_i32 s6, 0x3b76
	v_add_co_u32_e32 v14, vcc, s4, v3
	v_addc_co_u32_e32 v13, vcc, v13, v4, vcc
	v_lshlrev_b64 v[3:4], 2, v[1:2]
	s_mov_b32 s4, 0x24924925
	v_add_co_u32_e32 v3, vcc, v14, v3
	v_addc_co_u32_e32 v4, vcc, v13, v4, vcc
	global_load_dword v1, v[3:4], off
	v_mul_u32_u24_e32 v3, 0xf10, v0
	v_add_u32_sdwa v4, s19, v3 dst_sel:DWORD dst_unused:UNUSED_PAD src0_sel:DWORD src1_sel:WORD_1
	v_mul_hi_u32 v13, v4, s4
	s_movk_i32 s4, 0x39e9
	s_movk_i32 s5, 0x2de8
	s_movk_i32 s10, 0x3722
	v_sub_u32_e32 v14, v4, v13
	v_lshrrev_b32_e32 v14, 1, v14
	v_add_u32_e32 v13, v14, v13
	v_lshrrev_b32_e32 v13, 2, v13
	v_mul_lo_u32 v13, v13, 7
	s_mov_b32 s11, 0xb8d2
	s_mov_b32 s13, 0xbbdd
	;; [unrolled: 1-line block ×3, first 2 shown]
	v_sub_u32_e32 v4, v4, v13
	v_mul_u32_u24_e32 v13, 0x121, v4
	v_lshl_add_u32 v4, v0, 2, 0
	v_add_u32_e32 v14, 0x200, v4
	s_movk_i32 s15, 0x44
	s_mov_b32 s19, 0xbbddb1e1
	s_mul_i32 s0, s0, s7
	s_lshl_b64 s[0:1], s[0:1], 2
	s_waitcnt vmcnt(15)
	ds_write2_b32 v4, v39, v40 offset1:119
	s_waitcnt vmcnt(13)
	ds_write2_b32 v14, v41, v42 offset0:110 offset1:229
	v_add_u32_e32 v14, 0x600, v4
	s_waitcnt vmcnt(11)
	ds_write2_b32 v14, v43, v44 offset0:92 offset1:211
	v_add_u32_e32 v14, 0xa00, v4
	;; [unrolled: 3-line block ×6, first 2 shown]
	s_waitcnt vmcnt(1)
	ds_write2_b32 v5, v11, v12 offset0:130 offset1:249
	s_waitcnt vmcnt(0)
	ds_write_b32 v4, v1 offset:7616
	v_mov_b32_e32 v1, 17
	v_mul_lo_u16_sdwa v1, v3, v1 dst_sel:DWORD dst_unused:UNUSED_PAD src0_sel:WORD_1 src1_sel:DWORD
	v_sub_u16_e32 v4, v0, v1
	v_lshlrev_b32_e32 v1, 2, v13
	v_lshlrev_b32_e32 v5, 2, v4
	v_add_u32_e32 v19, 0, v1
	v_add3_u32 v1, 0, v5, v1
	s_waitcnt lgkmcnt(0)
	s_barrier
	v_add_u32_e32 v3, v19, v5
	ds_read2_b32 v[15:16], v1 offset0:119 offset1:136
	ds_read2_b32 v[17:18], v1 offset0:153 offset1:170
	ds_read_b32 v6, v3
	ds_read2_b32 v[34:35], v1 offset0:17 offset1:34
	ds_read2_b32 v[26:27], v1 offset0:51 offset1:68
	;; [unrolled: 1-line block ×4, first 2 shown]
	s_waitcnt lgkmcnt(5)
	v_add_f16_e32 v7, v18, v15
	s_waitcnt lgkmcnt(3)
	v_add_f16_e32 v5, v34, v6
	v_add_f16_e32 v5, v5, v35
	s_waitcnt lgkmcnt(2)
	v_add_f16_e32 v5, v5, v26
	;; [unrolled: 3-line block ×3, first 2 shown]
	v_add_f16_sdwa v20, v34, v6 dst_sel:DWORD dst_unused:UNUSED_PAD src0_sel:WORD_1 src1_sel:WORD_1
	v_add_f16_e32 v5, v5, v24
	v_add_f16_sdwa v20, v20, v35 dst_sel:DWORD dst_unused:UNUSED_PAD src0_sel:DWORD src1_sel:WORD_1
	v_add_f16_e32 v5, v5, v15
	v_add_f16_sdwa v20, v20, v26 dst_sel:DWORD dst_unused:UNUSED_PAD src0_sel:DWORD src1_sel:WORD_1
	;; [unrolled: 2-line block ×5, first 2 shown]
	s_waitcnt lgkmcnt(0)
	v_add_f16_e32 v5, v5, v28
	v_add_f16_sdwa v9, v18, v15 dst_sel:DWORD dst_unused:UNUSED_PAD src0_sel:WORD_1 src1_sel:WORD_1
	v_sub_f16_e32 v10, v15, v18
	v_sub_f16_sdwa v13, v15, v18 dst_sel:DWORD dst_unused:UNUSED_PAD src0_sel:WORD_1 src1_sel:WORD_1
	v_add_f16_sdwa v15, v20, v15 dst_sel:DWORD dst_unused:UNUSED_PAD src0_sel:DWORD src1_sel:WORD_1
	ds_read2_b32 v[32:33], v1 offset0:221 offset1:238
	v_add_f16_e32 v36, v5, v29
	v_add_u32_e32 v5, 0x200, v1
	v_add_f16_sdwa v15, v15, v16 dst_sel:DWORD dst_unused:UNUSED_PAD src0_sel:DWORD src1_sel:WORD_1
	ds_read2_b32 v[41:42], v5 offset0:127 offset1:144
	v_add_f16_sdwa v15, v15, v17 dst_sel:DWORD dst_unused:UNUSED_PAD src0_sel:DWORD src1_sel:WORD_1
	v_add_f16_sdwa v25, v15, v18 dst_sel:DWORD dst_unused:UNUSED_PAD src0_sel:DWORD src1_sel:WORD_1
	v_add_f16_e32 v8, v17, v16
	v_add_f16_sdwa v11, v17, v16 dst_sel:DWORD dst_unused:UNUSED_PAD src0_sel:WORD_1 src1_sel:WORD_1
	v_sub_f16_e32 v12, v16, v17
	v_sub_f16_sdwa v14, v16, v17 dst_sel:DWORD dst_unused:UNUSED_PAD src0_sel:WORD_1 src1_sel:WORD_1
	v_add_f16_e32 v15, v28, v24
	v_add_f16_sdwa v16, v28, v24 dst_sel:DWORD dst_unused:UNUSED_PAD src0_sel:WORD_1 src1_sel:WORD_1
	v_sub_f16_e32 v17, v24, v28
	v_sub_f16_sdwa v18, v24, v28 dst_sel:DWORD dst_unused:UNUSED_PAD src0_sel:WORD_1 src1_sel:WORD_1
	v_add_f16_sdwa v24, v25, v28 dst_sel:DWORD dst_unused:UNUSED_PAD src0_sel:DWORD src1_sel:WORD_1
	v_add_f16_sdwa v37, v24, v29 dst_sel:DWORD dst_unused:UNUSED_PAD src0_sel:DWORD src1_sel:WORD_1
	s_waitcnt lgkmcnt(1)
	v_add_f16_e32 v36, v36, v32
	v_add_f16_e32 v20, v29, v23
	v_add_f16_sdwa v21, v29, v23 dst_sel:DWORD dst_unused:UNUSED_PAD src0_sel:WORD_1 src1_sel:WORD_1
	v_sub_f16_e32 v22, v23, v29
	v_sub_f16_sdwa v23, v23, v29 dst_sel:DWORD dst_unused:UNUSED_PAD src0_sel:WORD_1 src1_sel:WORD_1
	v_add_f16_e32 v28, v33, v26
	v_add_f16_sdwa v29, v33, v26 dst_sel:DWORD dst_unused:UNUSED_PAD src0_sel:WORD_1 src1_sel:WORD_1
	v_sub_f16_e32 v30, v26, v33
	v_sub_f16_sdwa v31, v26, v33 dst_sel:DWORD dst_unused:UNUSED_PAD src0_sel:WORD_1 src1_sel:WORD_1
	;; [unrolled: 4-line block ×3, first 2 shown]
	v_add_f16_sdwa v32, v37, v32 dst_sel:DWORD dst_unused:UNUSED_PAD src0_sel:DWORD src1_sel:WORD_1
	v_add_f16_e32 v36, v36, v33
	s_waitcnt lgkmcnt(0)
	v_sub_f16_sdwa v40, v34, v42 dst_sel:DWORD dst_unused:UNUSED_PAD src0_sel:WORD_1 src1_sel:WORD_1
	v_add_f16_sdwa v43, v32, v33 dst_sel:DWORD dst_unused:UNUSED_PAD src0_sel:DWORD src1_sel:WORD_1
	v_add_f16_e32 v37, v42, v34
	v_add_f16_e32 v36, v36, v41
	v_mul_f16_e32 v49, 0xb5c8, v40
	v_add_f16_sdwa v39, v42, v34 dst_sel:DWORD dst_unused:UNUSED_PAD src0_sel:WORD_1 src1_sel:WORD_1
	v_sub_f16_e32 v38, v34, v42
	v_add_f16_e32 v32, v41, v35
	v_add_f16_sdwa v33, v41, v35 dst_sel:DWORD dst_unused:UNUSED_PAD src0_sel:WORD_1 src1_sel:WORD_1
	v_sub_f16_e32 v34, v35, v41
	v_sub_f16_sdwa v35, v35, v41 dst_sel:DWORD dst_unused:UNUSED_PAD src0_sel:WORD_1 src1_sel:WORD_1
	v_add_f16_sdwa v41, v43, v41 dst_sel:DWORD dst_unused:UNUSED_PAD src0_sel:DWORD src1_sel:WORD_1
	v_add_f16_e32 v47, v36, v42
	v_fma_f16 v36, v37, s6, -v49
	v_add_f16_sdwa v48, v41, v42 dst_sel:WORD_1 dst_unused:UNUSED_PAD src0_sel:DWORD src1_sel:WORD_1
	v_add_f16_e32 v41, v36, v6
	v_mul_f16_e32 v36, 0xb964, v35
	v_fma_f16 v42, v32, s4, -v36
	v_mul_f16_e32 v71, 0xb5c8, v38
	v_add_f16_e32 v42, v42, v41
	v_fma_f16 v41, v39, s6, v71
	v_mul_f16_e32 v50, 0xb964, v34
	v_add_f16_sdwa v41, v41, v6 dst_sel:DWORD dst_unused:UNUSED_PAD src0_sel:DWORD src1_sel:WORD_1
	v_fma_f16 v43, v33, s4, v50
	v_mul_f16_e32 v72, 0xb964, v40
	v_add_f16_e32 v43, v43, v41
	v_fma_f16 v41, v37, s4, -v72
	v_mul_f16_e32 v51, 0xbbf7, v35
	v_add_f16_e32 v41, v41, v6
	v_fma_f16 v44, v32, s5, -v51
	v_mul_f16_e32 v73, 0xb964, v38
	v_add_f16_e32 v44, v44, v41
	v_fma_f16 v41, v39, s4, v73
	v_mul_f16_e32 v53, 0xbbf7, v34
	v_add_f16_sdwa v41, v41, v6 dst_sel:DWORD dst_unused:UNUSED_PAD src0_sel:DWORD src1_sel:WORD_1
	v_fma_f16 v45, v33, s5, v53
	v_add_f16_e32 v45, v45, v41
	v_mul_f16_e32 v41, 0xbb29, v31
	v_fma_f16 v46, v28, s10, -v41
	v_mul_f16_e32 v52, 0xbb29, v30
	v_add_f16_e32 v46, v46, v42
	v_fma_f16 v42, v29, s10, v52
	v_mul_f16_e32 v54, 0xba62, v31
	v_add_f16_e32 v43, v42, v43
	v_fma_f16 v42, v28, s11, -v54
	v_mul_f16_e32 v56, 0xba62, v30
	v_add_f16_e32 v44, v42, v44
	v_fma_f16 v42, v29, s11, v56
	v_add_f16_e32 v45, v42, v45
	v_mul_f16_e32 v42, 0xbbf7, v27
	v_fma_f16 v55, v24, s5, -v42
	v_add_f16_e32 v46, v55, v46
	v_mul_f16_e32 v55, 0xbbf7, v26
	v_fma_f16 v57, v25, s5, v55
	v_add_f16_e32 v60, v57, v43
	v_mul_f16_e32 v57, 0xb1e1, v27
	v_fma_f16 v43, v24, s13, -v57
	v_mul_f16_e32 v59, 0xb1e1, v26
	v_add_f16_e32 v44, v43, v44
	v_fma_f16 v43, v25, s13, v59
	v_add_f16_e32 v45, v43, v45
	v_mul_f16_e32 v43, 0xbbb2, v23
	v_fma_f16 v58, v20, s12, -v43
	v_add_f16_e32 v46, v58, v46
	v_mul_f16_e32 v58, 0xbbb2, v22
	v_fma_f16 v61, v21, s12, v58
	v_add_f16_e32 v62, v61, v60
	v_mul_f16_e32 v60, 0x3836, v23
	;; [unrolled: 12-line block ×3, first 2 shown]
	v_fma_f16 v66, v15, s12, -v62
	v_add_f16_e32 v67, v66, v64
	v_mul_f16_e32 v66, 0x3bb2, v17
	v_fma_f16 v64, v16, s12, v66
	v_add_f16_e32 v68, v64, v45
	v_mul_f16_e32 v45, 0xb836, v13
	v_fma_f16 v64, v7, s14, -v45
	v_add_f16_e32 v70, v64, v46
	v_mul_f16_e32 v64, 0xb836, v10
	v_fma_f16 v46, v9, s14, v64
	v_add_f16_e32 v74, v46, v65
	v_mul_f16_e32 v65, 0x3b29, v13
	v_fma_f16 v46, v7, s10, -v65
	v_mul_f16_e32 v69, 0x3b29, v10
	v_add_f16_e32 v75, v46, v67
	v_fma_f16 v46, v9, s10, v69
	v_add_f16_e32 v76, v46, v68
	v_mul_f16_e32 v46, 0xb1e1, v14
	v_fma_f16 v67, v8, s13, -v46
	v_add_f16_e32 v77, v67, v70
	v_mul_f16_e32 v67, 0xb1e1, v12
	v_fma_f16 v68, v11, s13, v67
	v_add_f16_e32 v74, v68, v74
	v_mul_f16_e32 v68, 0x35c8, v14
	v_fma_f16 v70, v8, s6, -v68
	v_add_f16_e32 v75, v70, v75
	v_mul_f16_e32 v70, 0x35c8, v12
	v_fma_f16 v78, v11, s6, v70
	v_add_f16_e32 v76, v78, v76
	v_pack_b32_f16 v75, v75, v76
	v_pack_b32_f16 v74, v77, v74
	v_mad_u32_u24 v19, v4, s15, v19
	s_barrier
	ds_write2_b32 v19, v74, v75 offset0:1 offset1:2
	v_mul_f16_e32 v74, 0xbb29, v40
	v_fma_f16 v75, v37, s10, -v74
	v_mul_f16_e32 v76, 0xba62, v35
	v_add_f16_e32 v75, v75, v6
	v_fma_f16 v77, v32, s11, -v76
	v_add_f16_e32 v75, v77, v75
	v_mul_f16_e32 v77, 0xbb29, v38
	v_fma_f16 v78, v39, s10, v77
	v_mul_f16_e32 v79, 0xba62, v34
	v_add_f16_sdwa v78, v78, v6 dst_sel:DWORD dst_unused:UNUSED_PAD src0_sel:DWORD src1_sel:WORD_1
	v_fma_f16 v80, v33, s11, v79
	v_add_f16_e32 v78, v80, v78
	v_mul_f16_e32 v80, 0xbbf7, v40
	v_fma_f16 v81, v37, s5, -v80
	v_mul_f16_e32 v82, 0xb1e1, v35
	v_add_f16_e32 v81, v81, v6
	v_fma_f16 v83, v32, s13, -v82
	v_add_f16_e32 v81, v83, v81
	v_mul_f16_e32 v83, 0xbbf7, v38
	v_fma_f16 v84, v39, s5, v83
	v_mul_f16_e32 v85, 0xb1e1, v34
	v_add_f16_sdwa v84, v84, v6 dst_sel:DWORD dst_unused:UNUSED_PAD src0_sel:DWORD src1_sel:WORD_1
	v_fma_f16 v86, v33, s13, v85
	v_add_f16_e32 v84, v86, v84
	v_mul_f16_e32 v86, 0x31e1, v31
	v_fma_f16 v87, v28, s13, -v86
	v_add_f16_e32 v75, v87, v75
	v_mul_f16_e32 v87, 0x31e1, v30
	v_fma_f16 v88, v29, s13, v87
	v_add_f16_e32 v78, v88, v78
	v_mul_f16_e32 v88, 0x3bb2, v31
	v_fma_f16 v89, v28, s12, -v88
	v_add_f16_e32 v81, v89, v81
	v_mul_f16_e32 v89, 0x3bb2, v30
	;; [unrolled: 6-line block ×12, first 2 shown]
	v_fma_f16 v110, v11, s4, v109
	v_add_f16_e32 v84, v110, v84
	v_pack_b32_f16 v81, v81, v84
	v_pack_b32_f16 v75, v75, v78
	ds_write2_b32 v19, v75, v81 offset0:3 offset1:4
	v_mul_f16_e32 v75, 0xbbb2, v40
	v_fma_f16 v78, v37, s12, -v75
	v_mul_f16_e32 v81, 0x3836, v35
	v_add_f16_e32 v78, v78, v6
	v_fma_f16 v84, v32, s14, -v81
	v_add_f16_e32 v78, v84, v78
	v_mul_f16_e32 v84, 0xbbb2, v38
	v_fma_f16 v110, v39, s12, v84
	v_mul_f16_e32 v111, 0x3836, v34
	v_add_f16_sdwa v110, v110, v6 dst_sel:DWORD dst_unused:UNUSED_PAD src0_sel:DWORD src1_sel:WORD_1
	v_fma_f16 v112, v33, s14, v111
	v_add_f16_e32 v110, v112, v110
	v_mul_f16_e32 v112, 0xba62, v40
	v_fma_f16 v113, v37, s11, -v112
	v_mul_f16_e32 v114, 0x3bb2, v35
	v_add_f16_e32 v113, v113, v6
	v_fma_f16 v115, v32, s12, -v114
	v_add_f16_e32 v113, v115, v113
	v_mul_f16_e32 v115, 0xba62, v38
	v_fma_f16 v116, v39, s11, v115
	v_mul_f16_e32 v117, 0x3bb2, v34
	v_add_f16_sdwa v116, v116, v6 dst_sel:DWORD dst_unused:UNUSED_PAD src0_sel:DWORD src1_sel:WORD_1
	v_fma_f16 v118, v33, s12, v117
	v_add_f16_e32 v116, v118, v116
	v_mul_f16_e32 v118, 0x3964, v31
	v_fma_f16 v119, v28, s4, -v118
	v_add_f16_e32 v78, v119, v78
	v_mul_f16_e32 v119, 0x3964, v30
	v_fma_f16 v120, v29, s4, v119
	v_add_f16_e32 v110, v120, v110
	v_mul_f16_e32 v120, 0xb5c8, v31
	v_fma_f16 v121, v28, s6, -v120
	v_add_f16_e32 v113, v121, v113
	v_mul_f16_e32 v121, 0xb5c8, v30
	;; [unrolled: 6-line block ×12, first 2 shown]
	v_fma_f16 v142, v11, s10, v141
	v_add_f16_e32 v116, v142, v116
	v_pack_b32_f16 v113, v113, v116
	v_pack_b32_f16 v78, v78, v110
	v_mul_f16_e32 v110, 0xb836, v38
	ds_write2_b32 v19, v78, v113 offset0:5 offset1:6
	v_or_b32_e32 v47, v48, v47
	v_fma_f16 v48, v37, s6, v49
	v_fma_f16 v49, v39, s6, -v71
	v_fma_f16 v71, v37, s4, v72
	v_fma_f16 v72, v39, s4, -v73
	;; [unrolled: 2-line block ×4, first 2 shown]
	v_fma_f16 v80, v39, s12, -v84
	v_fma_f16 v83, v37, s11, v112
	v_fma_f16 v84, v39, s11, -v115
	v_fma_f16 v112, v39, s14, v110
	v_fma_f16 v110, v39, s14, -v110
	v_pack_b32_f16 v39, v39, v40
	v_mul_f16_e32 v40, 0xb836, v40
	v_fma_f16 v75, v37, s12, v75
	v_fma_f16 v113, v37, s14, -v40
	v_fma_f16 v40, v37, s14, v40
	v_pack_b32_f16 v37, v38, v37
	s_mov_b32 s15, 0xb1e1bbdd
	v_pk_mul_f16 v37, v37, s19
	v_pk_fma_f16 v38, v39, s15, v37 neg_lo:[1,0,0] neg_hi:[1,0,0]
	v_pk_fma_f16 v115, v39, s15, v37
	v_pk_fma_f16 v37, v39, s15, v37 neg_lo:[0,0,1] neg_hi:[0,0,1]
	v_add_f16_e32 v39, v48, v6
	v_add_f16_sdwa v48, v49, v6 dst_sel:DWORD dst_unused:UNUSED_PAD src0_sel:DWORD src1_sel:WORD_1
	v_add_f16_e32 v49, v71, v6
	v_add_f16_sdwa v71, v72, v6 dst_sel:DWORD dst_unused:UNUSED_PAD src0_sel:DWORD src1_sel:WORD_1
	v_add_f16_e32 v72, v73, v6
	v_add_f16_sdwa v73, v74, v6 dst_sel:DWORD dst_unused:UNUSED_PAD src0_sel:DWORD src1_sel:WORD_1
	v_add_f16_e32 v74, v77, v6
	v_add_f16_sdwa v77, v78, v6 dst_sel:DWORD dst_unused:UNUSED_PAD src0_sel:DWORD src1_sel:WORD_1
	v_add_f16_e32 v75, v75, v6
	v_add_f16_sdwa v78, v80, v6 dst_sel:DWORD dst_unused:UNUSED_PAD src0_sel:DWORD src1_sel:WORD_1
	v_add_f16_e32 v80, v83, v6
	v_add_f16_sdwa v83, v84, v6 dst_sel:DWORD dst_unused:UNUSED_PAD src0_sel:DWORD src1_sel:WORD_1
	v_add_f16_e32 v84, v113, v6
	v_add_f16_sdwa v112, v112, v6 dst_sel:DWORD dst_unused:UNUSED_PAD src0_sel:DWORD src1_sel:WORD_1
	v_add_f16_e32 v40, v40, v6
	v_add_f16_sdwa v110, v110, v6 dst_sel:DWORD dst_unused:UNUSED_PAD src0_sel:DWORD src1_sel:WORD_1
	v_pk_add_f16 v38, v38, v6 op_sel:[0,1] op_sel_hi:[1,0]
	v_pk_add_f16 v113, v115, v6 op_sel:[0,1] op_sel_hi:[1,0]
	;; [unrolled: 1-line block ×3, first 2 shown]
	v_fma_f16 v37, v33, s4, -v50
	v_fma_f16 v36, v32, s4, v36
	v_add_f16_e32 v37, v37, v48
	v_fma_f16 v48, v33, s5, -v53
	v_add_f16_e32 v36, v36, v39
	v_fma_f16 v39, v32, s5, v51
	v_add_f16_e32 v48, v48, v71
	v_fma_f16 v71, v32, s14, v81
	;; [unrolled: 2-line block ×3, first 2 shown]
	v_fma_f16 v50, v33, s11, -v79
	v_fma_f16 v53, v33, s13, -v85
	v_add_f16_e32 v71, v71, v75
	v_mul_f16_e32 v75, 0x3b29, v35
	v_add_f16_e32 v49, v49, v72
	v_add_f16_e32 v50, v50, v73
	v_fma_f16 v51, v32, s13, v82
	v_add_f16_e32 v53, v53, v77
	v_fma_f16 v72, v33, s14, -v111
	v_fma_f16 v73, v32, s12, v114
	v_fma_f16 v76, v32, s10, -v75
	v_mul_f16_e32 v77, 0x3b29, v34
	v_fma_f16 v75, v32, s10, v75
	v_pack_b32_f16 v32, v34, v32
	s_mov_b32 s19, 0x3b7635c8
	v_add_f16_e32 v51, v51, v74
	v_add_f16_e32 v72, v72, v78
	v_fma_f16 v74, v33, s12, -v117
	v_fma_f16 v78, v33, s10, v77
	v_add_f16_e32 v40, v75, v40
	v_fma_f16 v75, v33, s10, -v77
	v_pack_b32_f16 v33, v33, v35
	s_mov_b32 s15, 0x35c83b76
	v_pk_mul_f16 v32, v32, s19
	v_pk_fma_f16 v34, v33, s15, v32 neg_lo:[1,0,0] neg_hi:[1,0,0]
	v_pk_fma_f16 v35, v33, s15, v32
	v_pk_fma_f16 v32, v33, s15, v32 neg_lo:[0,0,1] neg_hi:[0,0,1]
	v_fma_f16 v33, v29, s10, -v52
	v_add_f16_e32 v33, v33, v37
	v_fma_f16 v37, v29, s11, -v56
	v_pk_add_f16 v6, v32, v6
	v_fma_f16 v32, v28, s10, v41
	v_add_f16_e32 v37, v37, v48
	v_fma_f16 v48, v29, s12, -v89
	v_pk_add_f16 v34, v34, v38
	v_add_f16_e32 v32, v32, v36
	v_fma_f16 v36, v28, s11, v54
	v_fma_f16 v38, v28, s13, v86
	;; [unrolled: 1-line block ×3, first 2 shown]
	v_add_f16_e32 v48, v48, v53
	v_mul_f16_e32 v53, 0xbbf7, v31
	v_add_f16_e32 v36, v36, v39
	v_add_f16_e32 v38, v38, v49
	v_fma_f16 v39, v29, s13, -v87
	v_add_f16_e32 v41, v41, v51
	v_fma_f16 v49, v28, s4, v118
	v_fma_f16 v51, v28, s6, v120
	v_fma_f16 v54, v28, s5, -v53
	v_mul_f16_e32 v56, 0xbbf7, v30
	v_fma_f16 v53, v28, s5, v53
	v_pack_b32_f16 v28, v30, v28
	s_mov_b32 s19, 0xbacdb836
	v_add_f16_e32 v39, v39, v50
	v_add_f16_e32 v49, v49, v71
	v_fma_f16 v50, v29, s4, -v119
	v_fma_f16 v52, v29, s6, -v121
	v_fma_f16 v71, v29, s5, v56
	v_add_f16_e32 v40, v53, v40
	v_fma_f16 v53, v29, s5, -v56
	v_pack_b32_f16 v29, v29, v31
	s_mov_b32 s15, 0xb836bacd
	v_pk_mul_f16 v28, v28, s19
	v_pk_fma_f16 v30, v29, s15, v28 neg_lo:[1,0,0] neg_hi:[1,0,0]
	v_pk_fma_f16 v31, v29, s15, v28
	v_pk_fma_f16 v28, v29, s15, v28 neg_lo:[0,0,1] neg_hi:[0,0,1]
	v_fma_f16 v29, v25, s5, -v55
	v_pk_add_f16 v35, v35, v113
	v_pk_add_f16 v6, v28, v6
	v_fma_f16 v28, v24, s5, v42
	v_add_f16_e32 v29, v29, v33
	v_fma_f16 v33, v25, s13, -v59
	v_pk_add_f16 v30, v30, v34
	v_pk_add_f16 v31, v31, v35
	v_add_f16_e32 v28, v28, v32
	v_fma_f16 v32, v24, s13, v57
	v_add_f16_e32 v33, v33, v37
	v_fma_f16 v34, v24, s12, v90
	v_fma_f16 v35, v25, s12, -v91
	v_fma_f16 v37, v25, s6, -v93
	v_add_f16_e32 v73, v73, v80
	v_add_f16_e32 v50, v50, v72
	v_add_f16_e32 v32, v32, v36
	v_add_f16_e32 v34, v34, v38
	v_add_f16_e32 v35, v35, v39
	v_fma_f16 v36, v24, s6, v92
	v_add_f16_e32 v37, v37, v48
	v_fma_f16 v38, v24, s10, v122
	v_fma_f16 v39, v25, s10, -v123
	v_mul_f16_e32 v48, 0x3a62, v27
	v_add_f16_e32 v51, v51, v73
	v_add_f16_e32 v36, v36, v41
	;; [unrolled: 1-line block ×4, first 2 shown]
	v_fma_f16 v41, v24, s14, v124
	v_fma_f16 v49, v24, s11, -v48
	v_mul_f16_e32 v50, 0x3a62, v26
	v_fma_f16 v48, v24, s11, v48
	v_pack_b32_f16 v24, v26, v24
	s_mov_b32 s19, 0x39e93964
	v_add_f16_e32 v41, v41, v51
	v_fma_f16 v42, v25, s14, -v125
	v_fma_f16 v51, v25, s11, v50
	v_add_f16_e32 v40, v48, v40
	v_fma_f16 v48, v25, s11, -v50
	v_pack_b32_f16 v25, v25, v27
	s_mov_b32 s15, 0x396439e9
	v_pk_mul_f16 v24, v24, s19
	v_pk_fma_f16 v26, v25, s15, v24 neg_lo:[1,0,0] neg_hi:[1,0,0]
	v_pk_fma_f16 v27, v25, s15, v24
	v_pk_fma_f16 v24, v25, s15, v24 neg_lo:[0,0,1] neg_hi:[0,0,1]
	v_pk_add_f16 v6, v24, v6
	v_fma_f16 v24, v20, s12, v43
	v_pk_add_f16 v26, v26, v30
	v_add_f16_e32 v24, v24, v28
	v_fma_f16 v25, v21, s12, -v58
	v_fma_f16 v28, v20, s14, v60
	v_fma_f16 v30, v20, s4, v94
	v_add_f16_e32 v74, v74, v83
	v_pk_add_f16 v27, v27, v31
	v_add_f16_e32 v25, v25, v29
	v_add_f16_e32 v28, v28, v32
	v_fma_f16 v29, v21, s14, -v63
	v_add_f16_e32 v30, v30, v34
	v_fma_f16 v31, v21, s4, -v95
	v_fma_f16 v32, v20, s10, v96
	v_fma_f16 v34, v20, s13, v126
	v_add_f16_e32 v52, v52, v74
	v_add_f16_e32 v29, v29, v33
	;; [unrolled: 1-line block ×4, first 2 shown]
	v_fma_f16 v33, v21, s10, -v97
	v_add_f16_e32 v34, v34, v38
	v_fma_f16 v35, v21, s13, -v127
	v_fma_f16 v36, v20, s5, v128
	v_mul_f16_e32 v38, 0xb5c8, v23
	v_add_f16_e32 v42, v42, v52
	v_add_f16_e32 v33, v33, v37
	;; [unrolled: 1-line block ×4, first 2 shown]
	v_fma_f16 v37, v21, s5, -v129
	v_fma_f16 v39, v20, s6, -v38
	v_mul_f16_e32 v41, 0xb5c8, v22
	v_fma_f16 v38, v20, s6, v38
	v_pack_b32_f16 v20, v22, v20
	s_mov_b32 s19, 0xb8d2ba62
	v_add_f16_e32 v37, v37, v42
	v_fma_f16 v42, v21, s6, v41
	v_add_f16_e32 v38, v38, v40
	v_fma_f16 v40, v21, s6, -v41
	v_pack_b32_f16 v21, v21, v23
	s_mov_b32 s15, 0xba62b8d2
	v_pk_mul_f16 v20, v20, s19
	v_pk_fma_f16 v22, v21, s15, v20 neg_lo:[1,0,0] neg_hi:[1,0,0]
	v_pk_fma_f16 v23, v21, s15, v20
	v_pk_fma_f16 v20, v21, s15, v20 neg_lo:[0,0,1] neg_hi:[0,0,1]
	v_pk_add_f16 v6, v20, v6
	v_fma_f16 v20, v15, s11, v44
	v_pk_add_f16 v22, v22, v26
	v_add_f16_e32 v20, v20, v24
	v_fma_f16 v21, v16, s11, -v61
	v_fma_f16 v24, v15, s12, v62
	v_fma_f16 v26, v15, s6, v98
	v_pk_add_f16 v23, v23, v27
	v_add_f16_e32 v21, v21, v25
	v_add_f16_e32 v24, v24, v28
	v_fma_f16 v25, v16, s12, -v66
	v_add_f16_e32 v26, v26, v30
	v_fma_f16 v27, v16, s6, -v99
	v_fma_f16 v28, v15, s14, v100
	v_fma_f16 v30, v15, s5, v130
	v_add_f16_e32 v25, v25, v29
	v_add_f16_e32 v27, v27, v31
	;; [unrolled: 1-line block ×3, first 2 shown]
	v_fma_f16 v29, v16, s14, -v101
	v_add_f16_e32 v30, v30, v34
	v_fma_f16 v31, v16, s5, -v131
	v_fma_f16 v32, v15, s4, v132
	v_mul_f16_e32 v34, 0xb1e1, v18
	v_add_f16_e32 v29, v29, v33
	v_add_f16_e32 v31, v31, v35
	;; [unrolled: 1-line block ×3, first 2 shown]
	v_fma_f16 v33, v16, s4, -v133
	v_fma_f16 v35, v15, s13, -v34
	v_mul_f16_e32 v36, 0xb1e1, v17
	v_fma_f16 v34, v15, s13, v34
	v_pack_b32_f16 v15, v17, v15
	s_mov_b32 s19, 0x37223b29
	v_add_f16_e32 v33, v33, v37
	v_fma_f16 v37, v16, s13, v36
	v_fma_f16 v36, v16, s13, -v36
	v_pack_b32_f16 v16, v16, v18
	s_mov_b32 s15, 0x3b293722
	v_pk_mul_f16 v15, v15, s19
	v_pk_fma_f16 v17, v16, s15, v15 neg_lo:[1,0,0] neg_hi:[1,0,0]
	v_pk_fma_f16 v18, v16, s15, v15
	v_pk_fma_f16 v15, v16, s15, v15 neg_lo:[0,0,1] neg_hi:[0,0,1]
	v_pk_add_f16 v6, v15, v6
	v_fma_f16 v15, v7, s14, v45
	v_pk_add_f16 v17, v17, v22
	v_add_f16_e32 v15, v15, v20
	v_fma_f16 v16, v9, s14, -v64
	v_fma_f16 v20, v7, s10, v65
	v_fma_f16 v22, v7, s5, v102
	v_pk_add_f16 v18, v18, v23
	v_add_f16_e32 v16, v16, v21
	v_add_f16_e32 v20, v20, v24
	v_fma_f16 v21, v9, s10, -v69
	v_add_f16_e32 v22, v22, v26
	v_fma_f16 v23, v9, s5, -v103
	v_fma_f16 v24, v7, s11, v104
	v_fma_f16 v26, v7, s6, v134
	v_add_f16_e32 v21, v21, v25
	v_add_f16_e32 v23, v23, v27
	;; [unrolled: 1-line block ×3, first 2 shown]
	v_fma_f16 v25, v9, s11, -v105
	v_add_f16_e32 v26, v26, v30
	v_fma_f16 v27, v9, s6, -v135
	v_fma_f16 v28, v7, s13, v136
	v_mul_f16_e32 v30, 0x3964, v13
	v_add_f16_e32 v25, v25, v29
	v_add_f16_e32 v27, v27, v31
	;; [unrolled: 1-line block ×3, first 2 shown]
	v_fma_f16 v29, v9, s13, -v137
	v_fma_f16 v31, v7, s4, -v30
	v_mul_f16_e32 v32, 0x3964, v10
	v_fma_f16 v30, v7, s4, v30
	v_pack_b32_f16 v7, v10, v7
	s_mov_b32 s19, 0xb461bbb2
	v_add_f16_e32 v29, v29, v33
	v_fma_f16 v33, v9, s4, v32
	v_fma_f16 v32, v9, s4, -v32
	v_pack_b32_f16 v9, v9, v13
	s_mov_b32 s15, 0xbbb2b461
	v_pk_mul_f16 v7, v7, s19
	v_pk_fma_f16 v10, v9, s15, v7 neg_lo:[1,0,0] neg_hi:[1,0,0]
	v_pk_fma_f16 v13, v9, s15, v7
	v_pk_fma_f16 v7, v9, s15, v7 neg_lo:[0,0,1] neg_hi:[0,0,1]
	v_pk_add_f16 v6, v7, v6
	v_fma_f16 v7, v8, s13, v46
	v_add_f16_e32 v76, v76, v84
	v_add_f16_e32 v78, v78, v112
	v_pk_add_f16 v10, v10, v17
	v_add_f16_e32 v7, v7, v15
	v_fma_f16 v9, v11, s13, -v67
	v_fma_f16 v15, v8, s6, v68
	v_fma_f16 v17, v8, s14, v106
	v_add_f16_e32 v54, v54, v76
	v_add_f16_e32 v71, v71, v78
	v_pk_add_f16 v13, v13, v18
	v_add_f16_e32 v9, v9, v16
	v_add_f16_e32 v15, v15, v20
	v_fma_f16 v16, v11, s6, -v70
	v_add_f16_e32 v17, v17, v22
	v_fma_f16 v18, v11, s14, -v107
	v_fma_f16 v20, v8, s4, v108
	v_fma_f16 v22, v8, s11, v138
	v_add_f16_e32 v75, v75, v110
	v_add_f16_e32 v49, v49, v54
	;; [unrolled: 1-line block ×6, first 2 shown]
	v_fma_f16 v21, v11, s4, -v109
	v_add_f16_e32 v22, v22, v26
	v_fma_f16 v23, v11, s11, -v139
	v_fma_f16 v24, v8, s10, v140
	v_mul_f16_e32 v26, 0xbbb2, v14
	v_add_f16_e32 v53, v53, v75
	v_add_f16_e32 v39, v39, v49
	;; [unrolled: 1-line block ×6, first 2 shown]
	v_fma_f16 v25, v11, s10, -v141
	v_fma_f16 v27, v8, s12, -v26
	v_mul_f16_e32 v28, 0xbbb2, v12
	v_fma_f16 v26, v8, s12, v26
	v_pack_b32_f16 v8, v12, v8
	s_mov_b32 s19, 0x2de83bf7
	v_add_f16_e32 v48, v48, v53
	v_add_f16_e32 v35, v35, v39
	v_add_f16_e32 v37, v37, v42
	v_add_f16_e32 v25, v25, v29
	v_fma_f16 v29, v11, s12, v28
	v_fma_f16 v28, v11, s12, -v28
	v_pack_b32_f16 v11, v11, v14
	s_mov_b32 s15, 0x3bf72de8
	v_pk_mul_f16 v8, v8, s19
	v_add_f16_e32 v40, v40, v48
	v_add_f16_e32 v31, v31, v35
	;; [unrolled: 1-line block ×3, first 2 shown]
	v_pk_fma_f16 v12, v11, s15, v8 neg_lo:[1,0,0] neg_hi:[1,0,0]
	v_add_f16_e32 v34, v34, v38
	v_add_f16_e32 v36, v36, v40
	;; [unrolled: 1-line block ×4, first 2 shown]
	v_pk_add_f16 v10, v12, v10
	v_pk_fma_f16 v12, v11, s15, v8
	v_pk_fma_f16 v8, v11, s15, v8 neg_lo:[0,0,1] neg_hi:[0,0,1]
	v_add_f16_e32 v30, v30, v34
	v_add_f16_e32 v32, v32, v36
	v_pk_add_f16 v12, v12, v13
	v_pk_add_f16 v6, v8, v6
	v_pack_b32_f16 v8, v27, v29
	v_add_f16_e32 v26, v26, v30
	v_add_f16_e32 v28, v28, v32
	ds_write2_b32 v19, v47, v8 offset1:7
	v_alignbit_b32 v6, v6, v12, 16
	v_alignbit_b32 v8, v12, v10, 16
	ds_write2_b32 v19, v8, v6 offset0:8 offset1:9
	v_pack_b32_f16 v6, v24, v25
	v_pack_b32_f16 v8, v26, v28
	ds_write2_b32 v19, v8, v6 offset0:10 offset1:11
	v_pack_b32_f16 v6, v20, v21
	v_pack_b32_f16 v8, v22, v23
	;; [unrolled: 3-line block ×3, first 2 shown]
	ds_write2_b32 v19, v8, v6 offset0:14 offset1:15
	v_pack_b32_f16 v6, v7, v9
	v_lshlrev_b32_e32 v4, 6, v4
	ds_write_b32 v19, v6 offset:64
	s_waitcnt lgkmcnt(0)
	s_barrier
	global_load_dwordx4 v[6:9], v4, s[8:9]
	global_load_dwordx4 v[10:13], v4, s[8:9] offset:16
	global_load_dwordx4 v[14:17], v4, s[8:9] offset:32
	global_load_dwordx4 v[18:21], v4, s[8:9] offset:48
	ds_read2_b32 v[22:23], v1 offset0:51 offset1:68
	ds_read2_b32 v[24:25], v1 offset0:17 offset1:34
	;; [unrolled: 1-line block ×3, first 2 shown]
	ds_read_b32 v3, v3
	s_waitcnt lgkmcnt(3)
	v_lshrrev_b32_e32 v4, 16, v23
	s_waitcnt lgkmcnt(2)
	v_lshrrev_b32_e32 v28, 16, v24
	s_waitcnt vmcnt(3)
	v_mul_f16_sdwa v29, v6, v28 dst_sel:DWORD dst_unused:UNUSED_PAD src0_sel:WORD_1 src1_sel:DWORD
	v_fma_f16 v30, v6, v24, -v29
	ds_read_u16 v29, v1 offset:206
	v_mul_f16_sdwa v24, v6, v24 dst_sel:DWORD dst_unused:UNUSED_PAD src0_sel:WORD_1 src1_sel:DWORD
	v_fma_f16 v24, v6, v28, v24
	v_lshrrev_b32_e32 v6, 16, v25
	v_mul_f16_sdwa v28, v7, v6 dst_sel:DWORD dst_unused:UNUSED_PAD src0_sel:WORD_1 src1_sel:DWORD
	v_fma_f16 v28, v7, v25, -v28
	v_mul_f16_sdwa v25, v7, v25 dst_sel:DWORD dst_unused:UNUSED_PAD src0_sel:WORD_1 src1_sel:DWORD
	v_fma_f16 v25, v7, v6, v25
	s_waitcnt lgkmcnt(0)
	v_mul_f16_sdwa v6, v29, v8 dst_sel:DWORD dst_unused:UNUSED_PAD src0_sel:DWORD src1_sel:WORD_1
	v_fma_f16 v33, v8, v22, -v6
	v_mul_f16_sdwa v6, v8, v22 dst_sel:DWORD dst_unused:UNUSED_PAD src0_sel:WORD_1 src1_sel:DWORD
	v_fma_f16 v22, v29, v8, v6
	v_mul_f16_sdwa v6, v4, v9 dst_sel:DWORD dst_unused:UNUSED_PAD src0_sel:DWORD src1_sel:WORD_1
	v_mul_f16_sdwa v8, v23, v9 dst_sel:DWORD dst_unused:UNUSED_PAD src0_sel:DWORD src1_sel:WORD_1
	v_fma_f16 v34, v23, v9, -v6
	ds_read2_b32 v[6:7], v1 offset0:119 offset1:136
	v_fma_f16 v23, v4, v9, v8
	v_lshrrev_b32_e32 v4, 16, v26
	s_waitcnt vmcnt(2)
	v_mul_f16_sdwa v29, v4, v10 dst_sel:DWORD dst_unused:UNUSED_PAD src0_sel:DWORD src1_sel:WORD_1
	v_lshrrev_b32_e32 v8, 16, v27
	v_fma_f16 v35, v26, v10, -v29
	v_mul_f16_sdwa v26, v26, v10 dst_sel:DWORD dst_unused:UNUSED_PAD src0_sel:DWORD src1_sel:WORD_1
	v_fma_f16 v41, v4, v10, v26
	v_mul_f16_sdwa v4, v8, v11 dst_sel:DWORD dst_unused:UNUSED_PAD src0_sel:DWORD src1_sel:WORD_1
	v_fma_f16 v29, v27, v11, -v4
	v_mul_f16_sdwa v4, v27, v11 dst_sel:DWORD dst_unused:UNUSED_PAD src0_sel:DWORD src1_sel:WORD_1
	s_waitcnt lgkmcnt(0)
	v_lshrrev_b32_e32 v9, 16, v6
	v_fma_f16 v31, v8, v11, v4
	v_mul_f16_sdwa v4, v6, v12 dst_sel:DWORD dst_unused:UNUSED_PAD src0_sel:DWORD src1_sel:WORD_1
	v_fma_f16 v39, v9, v12, v4
	v_mul_f16_sdwa v4, v9, v12 dst_sel:DWORD dst_unused:UNUSED_PAD src0_sel:DWORD src1_sel:WORD_1
	ds_read2_b32 v[8:9], v1 offset0:153 offset1:170
	v_lshrrev_b32_e32 v10, 16, v7
	v_fma_f16 v36, v6, v12, -v4
	v_mul_f16_sdwa v4, v10, v13 dst_sel:DWORD dst_unused:UNUSED_PAD src0_sel:DWORD src1_sel:WORD_1
	v_fma_f16 v44, v7, v13, -v4
	v_mul_f16_sdwa v4, v7, v13 dst_sel:DWORD dst_unused:UNUSED_PAD src0_sel:DWORD src1_sel:WORD_1
	v_fma_f16 v45, v10, v13, v4
	s_waitcnt lgkmcnt(0)
	v_lshrrev_b32_e32 v4, 16, v8
	s_waitcnt vmcnt(1)
	v_mul_f16_sdwa v6, v8, v14 dst_sel:DWORD dst_unused:UNUSED_PAD src0_sel:DWORD src1_sel:WORD_1
	v_fma_f16 v46, v4, v14, v6
	ds_read2_b32 v[6:7], v1 offset0:187 offset1:204
	v_mul_f16_sdwa v4, v4, v14 dst_sel:DWORD dst_unused:UNUSED_PAD src0_sel:DWORD src1_sel:WORD_1
	v_fma_f16 v47, v8, v14, -v4
	v_lshrrev_b32_e32 v4, 16, v9
	v_mul_f16_sdwa v8, v4, v15 dst_sel:DWORD dst_unused:UNUSED_PAD src0_sel:DWORD src1_sel:WORD_1
	v_fma_f16 v38, v9, v15, -v8
	v_mul_f16_sdwa v8, v9, v15 dst_sel:DWORD dst_unused:UNUSED_PAD src0_sel:DWORD src1_sel:WORD_1
	v_fma_f16 v43, v4, v15, v8
	s_waitcnt lgkmcnt(0)
	v_lshrrev_b32_e32 v4, 16, v6
	v_mul_f16_sdwa v8, v6, v16 dst_sel:DWORD dst_unused:UNUSED_PAD src0_sel:DWORD src1_sel:WORD_1
	v_fma_f16 v48, v4, v16, v8
	ds_read2_b32 v[8:9], v1 offset0:221 offset1:238
	v_mul_f16_sdwa v4, v4, v16 dst_sel:DWORD dst_unused:UNUSED_PAD src0_sel:DWORD src1_sel:WORD_1
	v_fma_f16 v49, v6, v16, -v4
	v_lshrrev_b32_e32 v4, 16, v7
	v_mul_f16_sdwa v6, v4, v17 dst_sel:DWORD dst_unused:UNUSED_PAD src0_sel:DWORD src1_sel:WORD_1
	v_fma_f16 v42, v7, v17, -v6
	v_mul_f16_sdwa v6, v7, v17 dst_sel:DWORD dst_unused:UNUSED_PAD src0_sel:DWORD src1_sel:WORD_1
	v_fma_f16 v50, v4, v17, v6
	s_waitcnt lgkmcnt(0)
	v_lshrrev_b32_e32 v4, 16, v8
	s_waitcnt vmcnt(0)
	v_mul_f16_sdwa v6, v8, v18 dst_sel:DWORD dst_unused:UNUSED_PAD src0_sel:DWORD src1_sel:WORD_1
	v_fma_f16 v51, v4, v18, v6
	v_mul_f16_sdwa v4, v4, v18 dst_sel:DWORD dst_unused:UNUSED_PAD src0_sel:DWORD src1_sel:WORD_1
	v_fma_f16 v17, v8, v18, -v4
	ds_read2_b32 v[4:5], v5 offset0:127 offset1:144
	v_lshrrev_b32_e32 v6, 16, v9
	v_mul_f16_sdwa v7, v6, v19 dst_sel:DWORD dst_unused:UNUSED_PAD src0_sel:DWORD src1_sel:WORD_1
	v_fma_f16 v13, v9, v19, -v7
	v_mul_f16_sdwa v7, v9, v19 dst_sel:DWORD dst_unused:UNUSED_PAD src0_sel:DWORD src1_sel:WORD_1
	v_fma_f16 v15, v6, v19, v7
	s_waitcnt lgkmcnt(0)
	v_lshrrev_b32_e32 v6, 16, v4
	v_mul_f16_sdwa v7, v4, v20 dst_sel:DWORD dst_unused:UNUSED_PAD src0_sel:DWORD src1_sel:WORD_1
	v_fma_f16 v9, v6, v20, v7
	v_mul_f16_sdwa v6, v6, v20 dst_sel:DWORD dst_unused:UNUSED_PAD src0_sel:DWORD src1_sel:WORD_1
	v_fma_f16 v8, v4, v20, -v6
	v_lshrrev_b32_e32 v4, 16, v5
	v_mul_f16_sdwa v6, v4, v21 dst_sel:DWORD dst_unused:UNUSED_PAD src0_sel:DWORD src1_sel:WORD_1
	v_fma_f16 v6, v5, v21, -v6
	v_mul_f16_sdwa v5, v5, v21 dst_sel:DWORD dst_unused:UNUSED_PAD src0_sel:DWORD src1_sel:WORD_1
	v_fma_f16 v4, v4, v21, v5
	v_add_f16_e32 v5, v30, v3
	v_add_f16_sdwa v7, v24, v3 dst_sel:DWORD dst_unused:UNUSED_PAD src0_sel:DWORD src1_sel:WORD_1
	v_add_f16_e32 v5, v5, v28
	v_add_f16_e32 v7, v7, v25
	;; [unrolled: 1-line block ×29, first 2 shown]
	v_add_f16_sdwa v7, v7, v4 dst_sel:WORD_1 dst_unused:UNUSED_PAD src0_sel:DWORD src1_sel:DWORD
	v_sub_f16_e32 v11, v24, v4
	v_or_b32_e32 v40, v7, v5
	v_add_f16_e32 v10, v30, v6
	v_add_f16_e32 v5, v25, v9
	v_sub_f16_e32 v9, v25, v9
	v_mul_f16_e32 v37, 0xb5c8, v11
	v_sub_f16_e32 v7, v30, v6
	v_add_f16_e32 v6, v24, v4
	v_add_f16_e32 v4, v28, v8
	v_fma_f16 v12, v10, s6, -v37
	v_mul_f16_e32 v20, 0xb964, v9
	v_sub_f16_e32 v8, v28, v8
	v_add_f16_e32 v12, v12, v3
	v_fma_f16 v14, v4, s4, -v20
	v_mul_f16_e32 v32, 0xb5c8, v7
	v_add_f16_e32 v16, v14, v12
	v_fma_f16 v12, v6, s6, v32
	v_mul_f16_e32 v21, 0xb964, v8
	v_add_f16_sdwa v12, v12, v3 dst_sel:DWORD dst_unused:UNUSED_PAD src0_sel:DWORD src1_sel:WORD_1
	v_fma_f16 v14, v5, s4, v21
	v_add_f16_e32 v18, v14, v12
	v_add_f16_e32 v12, v33, v13
	v_sub_f16_e32 v14, v33, v13
	v_add_f16_e32 v13, v22, v15
	v_sub_f16_e32 v15, v22, v15
	v_mul_f16_e32 v26, 0xbb29, v15
	v_fma_f16 v19, v12, s10, -v26
	v_mul_f16_e32 v27, 0xbb29, v14
	v_add_f16_e32 v22, v19, v16
	v_fma_f16 v16, v13, s10, v27
	v_sub_f16_e32 v19, v23, v51
	v_add_f16_e32 v24, v16, v18
	v_add_f16_e32 v16, v34, v17
	v_sub_f16_e32 v18, v34, v17
	v_mul_f16_e32 v33, 0xbbf7, v19
	v_add_f16_e32 v17, v23, v51
	v_fma_f16 v23, v16, s5, -v33
	v_mul_f16_e32 v34, 0xbbf7, v18
	v_add_f16_e32 v28, v23, v22
	v_fma_f16 v22, v17, s5, v34
	v_sub_f16_e32 v25, v41, v50
	v_add_f16_e32 v30, v22, v24
	v_add_f16_e32 v22, v35, v42
	v_sub_f16_e32 v24, v35, v42
	v_add_f16_e32 v23, v41, v50
	v_mul_f16_e32 v41, 0xbbb2, v25
	v_fma_f16 v35, v22, s12, -v41
	v_mul_f16_e32 v42, 0xbbb2, v24
	v_add_f16_e32 v35, v35, v28
	v_fma_f16 v28, v23, s12, v42
	v_add_f16_e32 v50, v28, v30
	v_add_f16_e32 v28, v29, v49
	v_sub_f16_e32 v30, v29, v49
	v_add_f16_e32 v29, v31, v48
	v_sub_f16_e32 v31, v31, v48
	v_mul_f16_e32 v48, 0xba62, v31
	v_fma_f16 v49, v28, s11, -v48
	v_add_f16_e32 v51, v49, v35
	v_mul_f16_e32 v49, 0xba62, v30
	v_fma_f16 v35, v29, s11, v49
	v_add_f16_e32 v52, v35, v50
	v_add_f16_e32 v35, v36, v38
	v_sub_f16_e32 v38, v36, v38
	v_add_f16_e32 v36, v39, v43
	v_sub_f16_e32 v39, v39, v43
	v_mul_f16_e32 v50, 0xb836, v39
	v_fma_f16 v43, v35, s14, -v50
	v_add_f16_e32 v53, v43, v51
	v_mul_f16_e32 v51, 0xb836, v38
	;; [unrolled: 10-line block ×3, first 2 shown]
	v_fma_f16 v55, v44, s13, v52
	v_add_f16_e32 v54, v55, v54
	v_pack_b32_f16 v53, v53, v54
	s_barrier
	ds_write2_b32 v1, v40, v53 offset1:17
	v_mul_f16_e32 v40, 0xb964, v11
	v_fma_f16 v53, v10, s4, -v40
	v_mul_f16_e32 v54, 0xbbf7, v9
	v_add_f16_e32 v53, v53, v3
	v_fma_f16 v55, v4, s5, -v54
	v_add_f16_e32 v53, v55, v53
	v_mul_f16_e32 v55, 0xb964, v7
	v_fma_f16 v56, v6, s4, v55
	v_mul_f16_e32 v57, 0xbbf7, v8
	v_add_f16_sdwa v56, v56, v3 dst_sel:DWORD dst_unused:UNUSED_PAD src0_sel:DWORD src1_sel:WORD_1
	v_fma_f16 v58, v5, s5, v57
	v_add_f16_e32 v56, v58, v56
	v_mul_f16_e32 v58, 0xbb29, v11
	v_fma_f16 v59, v10, s10, -v58
	v_mul_f16_e32 v60, 0xba62, v9
	v_add_f16_e32 v59, v59, v3
	v_fma_f16 v61, v4, s11, -v60
	v_add_f16_e32 v59, v61, v59
	v_mul_f16_e32 v61, 0xbb29, v7
	v_fma_f16 v62, v6, s10, v61
	v_mul_f16_e32 v63, 0xba62, v8
	v_add_f16_sdwa v62, v62, v3 dst_sel:DWORD dst_unused:UNUSED_PAD src0_sel:DWORD src1_sel:WORD_1
	v_fma_f16 v64, v5, s11, v63
	v_add_f16_e32 v62, v64, v62
	v_mul_f16_e32 v64, 0xba62, v15
	v_fma_f16 v65, v12, s11, -v64
	v_add_f16_e32 v53, v65, v53
	v_mul_f16_e32 v65, 0xba62, v14
	v_fma_f16 v66, v13, s11, v65
	v_add_f16_e32 v56, v66, v56
	v_mul_f16_e32 v66, 0x31e1, v15
	v_fma_f16 v67, v12, s13, -v66
	v_add_f16_e32 v59, v67, v59
	v_mul_f16_e32 v67, 0x31e1, v14
	;; [unrolled: 6-line block ×12, first 2 shown]
	v_fma_f16 v88, v44, s14, v87
	v_add_f16_e32 v62, v88, v62
	v_pack_b32_f16 v53, v53, v56
	v_pack_b32_f16 v56, v59, v62
	ds_write2_b32 v1, v53, v56 offset0:34 offset1:51
	v_mul_f16_e32 v56, 0xbbf7, v11
	v_mul_f16_e32 v59, 0xbbb2, v11
	;; [unrolled: 1-line block ×5, first 2 shown]
	v_fma_f16 v37, v10, s6, v37
	v_fma_f16 v40, v10, s4, v40
	;; [unrolled: 1-line block ×3, first 2 shown]
	v_fma_f16 v58, v10, s5, -v56
	v_fma_f16 v56, v10, s5, v56
	v_fma_f16 v62, v10, s12, -v59
	v_fma_f16 v59, v10, s12, v59
	;; [unrolled: 2-line block ×5, first 2 shown]
	v_fma_f16 v11, v6, s6, -v32
	v_fma_f16 v32, v6, s4, -v55
	;; [unrolled: 1-line block ×3, first 2 shown]
	v_mul_f16_e32 v61, 0xbbf7, v7
	v_mul_f16_e32 v94, 0xbbb2, v7
	;; [unrolled: 1-line block ×5, first 2 shown]
	v_fma_f16 v93, v6, s5, v61
	v_fma_f16 v61, v6, s5, -v61
	v_fma_f16 v95, v6, s12, v94
	v_fma_f16 v94, v6, s12, -v94
	;; [unrolled: 2-line block ×5, first 2 shown]
	v_add_f16_e32 v7, v37, v3
	v_add_f16_sdwa v11, v11, v3 dst_sel:DWORD dst_unused:UNUSED_PAD src0_sel:DWORD src1_sel:WORD_1
	v_add_f16_e32 v37, v40, v3
	v_add_f16_sdwa v32, v32, v3 dst_sel:DWORD dst_unused:UNUSED_PAD src0_sel:DWORD src1_sel:WORD_1
	;; [unrolled: 2-line block ×13, first 2 shown]
	v_fma_f16 v6, v4, s4, v20
	v_add_f16_e32 v6, v6, v7
	v_fma_f16 v7, v5, s4, -v21
	v_add_f16_e32 v7, v7, v11
	v_fma_f16 v11, v4, s5, v54
	v_add_f16_e32 v11, v11, v37
	v_fma_f16 v21, v4, s11, v60
	v_mul_f16_e32 v37, 0xb1e1, v9
	v_add_f16_e32 v21, v21, v40
	v_fma_f16 v40, v4, s13, -v37
	v_add_f16_e32 v40, v40, v55
	v_fma_f16 v37, v4, s13, v37
	v_mul_f16_e32 v55, 0x3836, v9
	v_fma_f16 v20, v5, s5, -v57
	v_add_f16_e32 v37, v37, v56
	v_fma_f16 v56, v4, s14, -v55
	v_fma_f16 v55, v4, s14, v55
	v_add_f16_e32 v20, v20, v32
	v_fma_f16 v32, v5, s11, -v63
	v_add_f16_e32 v55, v55, v59
	v_mul_f16_e32 v59, 0x3bb2, v9
	v_add_f16_e32 v32, v32, v53
	v_mul_f16_e32 v53, 0xb1e1, v8
	v_fma_f16 v60, v4, s12, -v59
	v_fma_f16 v59, v4, s12, v59
	v_mul_f16_e32 v63, 0x3b29, v9
	v_fma_f16 v54, v5, s13, v53
	v_fma_f16 v53, v5, s13, -v53
	v_add_f16_e32 v59, v59, v88
	v_fma_f16 v88, v4, s10, -v63
	v_fma_f16 v63, v4, s10, v63
	v_mul_f16_e32 v9, 0x35c8, v9
	v_add_f16_e32 v53, v53, v61
	v_mul_f16_e32 v57, 0x3836, v8
	v_add_f16_e32 v60, v60, v89
	v_mul_f16_e32 v61, 0x3bb2, v8
	v_mul_f16_e32 v89, 0x3b29, v8
	v_add_f16_e32 v63, v63, v90
	v_fma_f16 v90, v4, s6, -v9
	v_mul_f16_e32 v8, 0x35c8, v8
	v_add_f16_e32 v54, v54, v58
	v_add_f16_e32 v56, v56, v62
	v_fma_f16 v58, v5, s14, v57
	v_fma_f16 v57, v5, s14, -v57
	v_fma_f16 v62, v5, s12, v61
	v_fma_f16 v61, v5, s12, -v61
	v_add_f16_e32 v88, v88, v91
	v_fma_f16 v91, v5, s10, v89
	v_fma_f16 v89, v5, s10, -v89
	v_add_f16_e32 v90, v90, v92
	;; [unrolled: 3-line block ×3, first 2 shown]
	v_fma_f16 v5, v12, s10, v26
	v_add_f16_e32 v5, v5, v6
	v_fma_f16 v6, v13, s10, -v27
	v_add_f16_e32 v6, v6, v7
	v_fma_f16 v7, v12, s11, v64
	v_fma_f16 v4, v4, s6, v9
	v_add_f16_e32 v7, v7, v11
	v_fma_f16 v8, v13, s11, -v65
	v_fma_f16 v9, v12, s13, v66
	v_mul_f16_e32 v11, 0x3bb2, v15
	v_add_f16_e32 v4, v4, v10
	v_add_f16_e32 v8, v8, v20
	;; [unrolled: 1-line block ×3, first 2 shown]
	v_fma_f16 v10, v13, s13, -v67
	v_fma_f16 v20, v12, s12, -v11
	v_mul_f16_e32 v21, 0x3bb2, v14
	v_fma_f16 v11, v12, s12, v11
	v_mul_f16_e32 v27, 0x3964, v15
	v_add_f16_e32 v10, v10, v32
	v_fma_f16 v26, v13, s12, v21
	v_add_f16_e32 v11, v11, v37
	v_fma_f16 v21, v13, s12, -v21
	v_fma_f16 v32, v12, s4, -v27
	v_mul_f16_e32 v37, 0x3964, v14
	v_fma_f16 v27, v12, s4, v27
	v_add_f16_e32 v57, v57, v94
	v_add_f16_e32 v20, v20, v40
	;; [unrolled: 1-line block ×3, first 2 shown]
	v_fma_f16 v40, v13, s4, v37
	v_add_f16_e32 v27, v27, v55
	v_fma_f16 v37, v13, s4, -v37
	v_mul_f16_e32 v53, 0xb5c8, v15
	v_mul_f16_e32 v55, 0xb5c8, v14
	v_add_f16_e32 v58, v58, v93
	v_add_f16_e32 v61, v61, v96
	;; [unrolled: 1-line block ×5, first 2 shown]
	v_fma_f16 v54, v12, s6, -v53
	v_fma_f16 v56, v13, s6, v55
	v_fma_f16 v53, v12, s6, v53
	v_fma_f16 v55, v13, s6, -v55
	v_mul_f16_e32 v57, 0xbbf7, v15
	v_mul_f16_e32 v15, 0xb836, v15
	v_add_f16_e32 v40, v40, v58
	v_add_f16_e32 v53, v53, v59
	;; [unrolled: 1-line block ×3, first 2 shown]
	v_fma_f16 v58, v12, s5, -v57
	v_mul_f16_e32 v59, 0xbbf7, v14
	v_fma_f16 v57, v12, s5, v57
	v_fma_f16 v61, v12, s14, -v15
	v_mul_f16_e32 v14, 0xb836, v14
	v_fma_f16 v12, v12, s14, v15
	v_add_f16_e32 v4, v12, v4
	v_fma_f16 v12, v13, s14, -v14
	v_add_f16_e32 v3, v12, v3
	v_fma_f16 v12, v16, s5, v33
	v_add_f16_e32 v5, v12, v5
	v_fma_f16 v12, v17, s5, -v34
	v_add_f16_e32 v6, v12, v6
	;; [unrolled: 4-line block ×4, first 2 shown]
	v_add_f16_e32 v10, v12, v10
	v_mul_f16_e32 v12, 0x35c8, v19
	v_add_f16_e32 v54, v54, v60
	v_add_f16_e32 v56, v56, v62
	v_fma_f16 v60, v13, s5, v59
	v_fma_f16 v59, v13, s5, -v59
	v_fma_f16 v62, v13, s14, v14
	v_fma_f16 v13, v16, s6, -v12
	v_mul_f16_e32 v14, 0x35c8, v18
	v_fma_f16 v12, v16, s6, v12
	v_fma_f16 v15, v17, s6, v14
	v_add_f16_e32 v11, v12, v11
	v_fma_f16 v12, v17, s6, -v14
	v_mul_f16_e32 v14, 0xbb29, v19
	v_add_f16_e32 v13, v13, v20
	v_add_f16_e32 v12, v12, v21
	v_fma_f16 v20, v16, s10, -v14
	v_mul_f16_e32 v21, 0xbb29, v18
	v_fma_f16 v14, v16, s10, v14
	v_add_f16_e32 v15, v15, v26
	v_fma_f16 v26, v17, s10, v21
	v_add_f16_e32 v14, v14, v27
	v_fma_f16 v21, v17, s10, -v21
	v_mul_f16_e32 v27, 0xb836, v19
	v_mul_f16_e32 v33, 0xb836, v18
	v_add_f16_e32 v20, v20, v32
	v_add_f16_e32 v21, v21, v37
	v_fma_f16 v32, v16, s14, -v27
	v_fma_f16 v34, v17, s14, v33
	v_fma_f16 v27, v16, s14, v27
	v_fma_f16 v33, v17, s14, -v33
	v_mul_f16_e32 v37, 0x3a62, v19
	v_mul_f16_e32 v19, 0x3964, v19
	v_add_f16_e32 v26, v26, v40
	v_add_f16_e32 v27, v27, v53
	;; [unrolled: 1-line block ×3, first 2 shown]
	v_fma_f16 v40, v16, s11, -v37
	v_mul_f16_e32 v53, 0x3a62, v18
	v_fma_f16 v37, v16, s11, v37
	v_fma_f16 v55, v16, s4, -v19
	v_mul_f16_e32 v18, 0x3964, v18
	v_fma_f16 v16, v16, s4, v19
	v_add_f16_e32 v4, v16, v4
	v_fma_f16 v16, v17, s4, -v18
	v_add_f16_e32 v3, v16, v3
	v_fma_f16 v16, v22, s12, v41
	v_add_f16_e32 v5, v16, v5
	v_fma_f16 v16, v23, s12, -v42
	v_add_f16_e32 v6, v16, v6
	;; [unrolled: 4-line block ×4, first 2 shown]
	v_mul_f16_e32 v16, 0xbb29, v25
	v_add_f16_e32 v32, v32, v54
	v_add_f16_e32 v34, v34, v56
	v_fma_f16 v54, v17, s11, v53
	v_fma_f16 v53, v17, s11, -v53
	v_fma_f16 v56, v17, s4, v18
	v_fma_f16 v17, v22, s10, -v16
	v_add_f16_e32 v13, v17, v13
	v_mul_f16_e32 v17, 0xbb29, v24
	v_fma_f16 v16, v22, s10, v16
	v_add_f16_e32 v11, v16, v11
	v_fma_f16 v16, v23, s10, -v17
	v_fma_f16 v18, v23, s10, v17
	v_add_f16_e32 v12, v16, v12
	v_mul_f16_e32 v16, 0xb1e1, v25
	v_add_f16_e32 v15, v18, v15
	v_fma_f16 v17, v22, s13, -v16
	v_mul_f16_e32 v18, 0xb1e1, v24
	v_fma_f16 v16, v22, s13, v16
	v_fma_f16 v19, v23, s13, v18
	v_add_f16_e32 v14, v16, v14
	v_fma_f16 v16, v23, s13, -v18
	v_mul_f16_e32 v18, 0x3bf7, v25
	v_add_f16_e32 v17, v17, v20
	v_fma_f16 v20, v22, s5, -v18
	v_fma_f16 v18, v22, s5, v18
	v_add_f16_e32 v57, v57, v63
	v_add_f16_e32 v16, v16, v21
	v_mul_f16_e32 v21, 0x3bf7, v24
	v_add_f16_e32 v18, v18, v27
	v_mul_f16_e32 v27, 0xb5c8, v25
	v_add_f16_e32 v37, v37, v57
	v_add_f16_e32 v19, v19, v26
	;; [unrolled: 1-line block ×3, first 2 shown]
	v_fma_f16 v26, v23, s5, v21
	v_fma_f16 v21, v23, s5, -v21
	v_fma_f16 v32, v22, s6, -v27
	v_fma_f16 v27, v22, s6, v27
	v_mul_f16_e32 v25, 0xba62, v25
	v_add_f16_e32 v21, v21, v33
	v_mul_f16_e32 v33, 0xb5c8, v24
	v_add_f16_e32 v27, v27, v37
	v_fma_f16 v37, v22, s11, -v25
	v_mul_f16_e32 v24, 0xba62, v24
	v_fma_f16 v22, v22, s11, v25
	v_add_f16_e32 v4, v22, v4
	v_fma_f16 v22, v23, s11, -v24
	v_add_f16_e32 v3, v22, v3
	v_fma_f16 v22, v28, s11, v48
	v_add_f16_e32 v5, v22, v5
	v_fma_f16 v22, v29, s11, -v49
	v_add_f16_e32 v6, v22, v6
	;; [unrolled: 4-line block ×3, first 2 shown]
	v_fma_f16 v22, v28, s6, v78
	v_add_f16_e32 v58, v58, v88
	v_add_f16_e32 v9, v22, v9
	v_fma_f16 v22, v29, s6, -v79
	v_add_f16_e32 v40, v40, v58
	v_add_f16_e32 v10, v22, v10
	v_mul_f16_e32 v22, 0xb836, v31
	v_add_f16_e32 v26, v26, v34
	v_add_f16_e32 v32, v32, v40
	v_fma_f16 v34, v23, s6, v33
	v_fma_f16 v33, v23, s6, -v33
	v_fma_f16 v40, v23, s11, v24
	v_fma_f16 v23, v28, s14, -v22
	v_add_f16_e32 v13, v23, v13
	v_mul_f16_e32 v23, 0xb836, v30
	v_fma_f16 v22, v28, s14, v22
	v_add_f16_e32 v11, v22, v11
	v_fma_f16 v22, v29, s14, -v23
	v_add_f16_e32 v12, v22, v12
	v_mul_f16_e32 v22, 0x3bf7, v31
	v_fma_f16 v24, v29, s14, v23
	v_fma_f16 v23, v28, s5, -v22
	v_add_f16_e32 v17, v23, v17
	v_mul_f16_e32 v23, 0x3bf7, v30
	v_fma_f16 v22, v28, s5, v22
	v_add_f16_e32 v14, v22, v14
	v_fma_f16 v22, v29, s5, -v23
	v_add_f16_e32 v16, v22, v16
	v_mul_f16_e32 v22, 0xb964, v31
	v_add_f16_e32 v15, v24, v15
	v_fma_f16 v24, v29, s5, v23
	v_fma_f16 v23, v28, s4, -v22
	v_add_f16_e32 v20, v23, v20
	v_mul_f16_e32 v23, 0xb964, v30
	v_fma_f16 v22, v28, s4, v22
	v_add_f16_e32 v18, v22, v18
	v_fma_f16 v22, v29, s4, -v23
	v_add_f16_e32 v21, v22, v21
	v_mul_f16_e32 v22, 0xb1e1, v31
	v_add_f16_e32 v19, v24, v19
	v_fma_f16 v24, v29, s4, v23
	v_fma_f16 v23, v28, s13, -v22
	v_fma_f16 v22, v28, s13, v22
	v_add_f16_e32 v22, v22, v27
	v_mul_f16_e32 v27, 0x3b29, v31
	v_mul_f16_e32 v25, 0xb1e1, v30
	v_fma_f16 v31, v28, s10, -v27
	v_mul_f16_e32 v30, 0x3b29, v30
	v_fma_f16 v27, v28, s10, v27
	v_add_f16_e32 v4, v27, v4
	v_fma_f16 v27, v29, s10, -v30
	v_add_f16_e32 v3, v27, v3
	v_fma_f16 v27, v35, s14, v50
	v_add_f16_e32 v5, v27, v5
	v_fma_f16 v27, v36, s14, -v51
	v_add_f16_e32 v6, v27, v6
	;; [unrolled: 4-line block ×4, first 2 shown]
	v_mul_f16_e32 v27, 0x3a62, v39
	v_fma_f16 v28, v35, s11, -v27
	v_add_f16_e32 v13, v28, v13
	v_mul_f16_e32 v28, 0x3a62, v38
	v_fma_f16 v27, v35, s11, v27
	v_add_f16_e32 v11, v27, v11
	v_fma_f16 v27, v36, s11, -v28
	v_add_f16_e32 v12, v27, v12
	v_mul_f16_e32 v27, 0xb5c8, v39
	v_add_f16_e32 v24, v24, v26
	v_add_f16_e32 v23, v23, v32
	v_fma_f16 v26, v29, s13, v25
	v_fma_f16 v25, v29, s13, -v25
	v_fma_f16 v32, v29, s10, v30
	v_fma_f16 v29, v36, s11, v28
	v_fma_f16 v28, v35, s6, -v27
	v_add_f16_e32 v17, v28, v17
	v_mul_f16_e32 v28, 0xb5c8, v38
	v_fma_f16 v27, v35, s6, v27
	v_add_f16_e32 v14, v27, v14
	v_fma_f16 v27, v36, s6, -v28
	v_add_f16_e32 v16, v27, v16
	v_mul_f16_e32 v27, 0xb1e1, v39
	v_add_f16_e32 v15, v29, v15
	v_fma_f16 v29, v36, s6, v28
	v_fma_f16 v28, v35, s13, -v27
	v_add_f16_e32 v20, v28, v20
	v_mul_f16_e32 v28, 0xb1e1, v38
	v_fma_f16 v27, v35, s13, v27
	v_add_f16_e32 v89, v89, v98
	v_add_f16_e32 v18, v27, v18
	v_fma_f16 v27, v36, s13, -v28
	v_add_f16_e32 v91, v91, v97
	v_add_f16_e32 v59, v59, v89
	;; [unrolled: 1-line block ×3, first 2 shown]
	v_mul_f16_e32 v27, 0x3964, v39
	v_add_f16_e32 v60, v60, v91
	v_add_f16_e32 v53, v53, v59
	;; [unrolled: 1-line block ×3, first 2 shown]
	v_fma_f16 v29, v36, s13, v28
	v_fma_f16 v28, v35, s4, -v27
	v_add_f16_e32 v54, v54, v60
	v_add_f16_e32 v33, v33, v53
	;; [unrolled: 1-line block ×3, first 2 shown]
	v_mul_f16_e32 v28, 0x3964, v38
	v_fma_f16 v27, v35, s4, v27
	v_add_f16_e32 v34, v34, v54
	v_add_f16_e32 v25, v25, v33
	;; [unrolled: 1-line block ×3, first 2 shown]
	v_fma_f16 v27, v36, s4, -v28
	v_add_f16_e32 v26, v26, v34
	v_add_f16_e32 v24, v29, v24
	v_fma_f16 v29, v36, s4, v28
	v_add_f16_e32 v25, v27, v25
	v_mul_f16_e32 v27, 0xbbb2, v39
	v_add_f16_e32 v26, v29, v26
	v_fma_f16 v28, v35, s12, -v27
	v_mul_f16_e32 v29, 0xbbb2, v38
	v_fma_f16 v27, v35, s12, v27
	v_add_f16_e32 v4, v27, v4
	v_fma_f16 v27, v36, s12, -v29
	v_add_f16_e32 v3, v27, v3
	v_fma_f16 v27, v43, s13, v46
	v_add_f16_e32 v5, v27, v5
	v_fma_f16 v27, v44, s13, -v52
	v_add_f16_e32 v6, v27, v6
	;; [unrolled: 4-line block ×4, first 2 shown]
	v_mul_f16_e32 v27, 0x3964, v45
	v_add_f16_e32 v61, v61, v90
	v_fma_f16 v30, v36, s12, v29
	v_fma_f16 v29, v43, s4, -v27
	v_add_f16_e32 v55, v55, v61
	v_add_f16_e32 v13, v29, v13
	v_mul_f16_e32 v29, 0x3964, v47
	v_fma_f16 v27, v43, s4, v27
	v_add_f16_e32 v37, v37, v55
	v_add_f16_e32 v11, v27, v11
	v_fma_f16 v27, v44, s4, -v29
	v_add_f16_e32 v31, v31, v37
	v_add_f16_e32 v12, v27, v12
	v_mul_f16_e32 v27, 0xba62, v45
	v_add_f16_e32 v28, v28, v31
	v_fma_f16 v31, v44, s4, v29
	v_fma_f16 v29, v43, s11, -v27
	v_add_f16_e32 v17, v29, v17
	v_mul_f16_e32 v29, 0xba62, v47
	v_fma_f16 v27, v43, s11, v27
	v_add_f16_e32 v14, v27, v14
	v_fma_f16 v27, v44, s11, -v29
	v_add_f16_e32 v16, v27, v16
	v_mul_f16_e32 v27, 0x3b29, v45
	v_add_f16_e32 v15, v31, v15
	v_fma_f16 v31, v44, s11, v29
	v_fma_f16 v29, v43, s10, -v27
	v_add_f16_e32 v20, v29, v20
	v_mul_f16_e32 v29, 0x3b29, v47
	v_fma_f16 v27, v43, s10, v27
	v_add_f16_e32 v18, v27, v18
	v_fma_f16 v27, v44, s10, -v29
	v_add_f16_e32 v21, v27, v21
	v_mul_f16_e32 v27, 0xbbb2, v45
	v_add_f16_e32 v19, v31, v19
	v_fma_f16 v31, v44, s10, v29
	v_fma_f16 v29, v43, s12, -v27
	v_add_f16_e32 v92, v92, v99
	v_add_f16_e32 v23, v29, v23
	v_mul_f16_e32 v29, 0xbbb2, v47
	v_fma_f16 v27, v43, s12, v27
	v_add_f16_e32 v62, v62, v92
	v_add_f16_e32 v22, v27, v22
	v_fma_f16 v27, v44, s12, -v29
	v_add_f16_e32 v56, v56, v62
	v_add_f16_e32 v25, v27, v25
	v_mul_f16_e32 v27, 0x3bf7, v45
	v_add_f16_e32 v40, v40, v56
	v_add_f16_e32 v24, v31, v24
	v_fma_f16 v31, v44, s12, v29
	v_fma_f16 v29, v43, s5, -v27
	v_add_f16_e32 v32, v32, v40
	v_add_f16_e32 v28, v29, v28
	v_mul_f16_e32 v29, 0x3bf7, v47
	v_fma_f16 v27, v43, s5, v27
	v_add_f16_e32 v30, v30, v32
	v_add_f16_e32 v26, v31, v26
	v_fma_f16 v31, v44, s5, v29
	v_add_f16_e32 v4, v27, v4
	v_fma_f16 v27, v44, s5, -v29
	v_pack_b32_f16 v13, v13, v15
	v_pack_b32_f16 v15, v17, v19
	v_add_f16_e32 v30, v31, v30
	v_add_f16_e32 v3, v27, v3
	ds_write2_b32 v1, v13, v15 offset0:68 offset1:85
	v_pack_b32_f16 v13, v20, v24
	v_pack_b32_f16 v15, v23, v26
	ds_write2_b32 v1, v13, v15 offset0:102 offset1:119
	v_pack_b32_f16 v13, v28, v30
	v_pack_b32_f16 v3, v4, v3
	;; [unrolled: 3-line block ×4, first 2 shown]
	ds_write2_b32 v1, v3, v4 offset0:204 offset1:221
	v_mul_u32_u24_e32 v3, 0x2493, v0
	v_pack_b32_f16 v7, v7, v8
	v_lshrrev_b32_e32 v8, 16, v3
	v_mul_lo_u16_e32 v3, 7, v8
	v_pack_b32_f16 v9, v9, v10
	v_sub_u16_e32 v10, v0, v3
	v_mad_u64_u32 v[3:4], s[4:5], s16, v10, 0
	v_pack_b32_f16 v0, v5, v6
	ds_write_b32 v1, v0 offset:1088
	v_mov_b32_e32 v0, v4
	ds_write2_b32 v1, v9, v7 offset0:238 offset1:255
	v_mad_u64_u32 v[0:1], s[4:5], s17, v10, v[0:1]
	s_add_u32 s4, s22, s0
	v_mul_lo_u32 v1, s18, v8
	v_mov_b32_e32 v4, v0
	v_mul_lo_u16_e32 v0, 0x121, v10
	s_addc_u32 s5, s23, s1
	s_lshl_b64 s[0:1], s[2:3], 2
	v_lshlrev_b32_e32 v0, 2, v0
	v_lshlrev_b32_e32 v5, 2, v8
	s_add_u32 s0, s4, s0
	v_lshlrev_b64 v[3:4], 2, v[3:4]
	v_add3_u32 v6, 0, v0, v5
	s_addc_u32 s1, s5, s1
	s_waitcnt lgkmcnt(0)
	s_barrier
	ds_read_b32 v6, v6
	v_mov_b32_e32 v7, s1
	v_add_co_u32_e32 v8, vcc, s0, v3
	v_addc_co_u32_e32 v7, vcc, v7, v4, vcc
	v_lshlrev_b64 v[3:4], 2, v[1:2]
	s_mul_i32 s0, s18, 17
	v_add_co_u32_e32 v3, vcc, v8, v3
	v_addc_co_u32_e32 v4, vcc, v7, v4, vcc
	v_add3_u32 v0, 0, v5, v0
	s_waitcnt lgkmcnt(0)
	global_store_dword v[3:4], v6, off
	v_add_u32_e32 v1, s0, v1
	ds_read2_b32 v[3:4], v0 offset0:17 offset1:34
	v_lshlrev_b64 v[5:6], 2, v[1:2]
	v_add_u32_e32 v1, s0, v1
	v_add_co_u32_e32 v5, vcc, v8, v5
	v_addc_co_u32_e32 v6, vcc, v7, v6, vcc
	s_waitcnt lgkmcnt(0)
	global_store_dword v[5:6], v3, off
	v_lshlrev_b64 v[5:6], 2, v[1:2]
	v_add_u32_e32 v1, s0, v1
	v_add_co_u32_e32 v5, vcc, v8, v5
	v_addc_co_u32_e32 v6, vcc, v7, v6, vcc
	global_store_dword v[5:6], v4, off
	ds_read2_b32 v[3:4], v0 offset0:51 offset1:68
	v_lshlrev_b64 v[5:6], 2, v[1:2]
	v_add_u32_e32 v1, s0, v1
	v_add_co_u32_e32 v5, vcc, v8, v5
	v_addc_co_u32_e32 v6, vcc, v7, v6, vcc
	s_waitcnt lgkmcnt(0)
	global_store_dword v[5:6], v3, off
	v_lshlrev_b64 v[5:6], 2, v[1:2]
	v_add_u32_e32 v1, s0, v1
	v_add_co_u32_e32 v5, vcc, v8, v5
	v_addc_co_u32_e32 v6, vcc, v7, v6, vcc
	global_store_dword v[5:6], v4, off
	;; [unrolled: 12-line block ×7, first 2 shown]
	v_add_u32_e32 v0, 0x200, v0
	v_lshlrev_b64 v[5:6], 2, v[1:2]
	ds_read2_b32 v[3:4], v0 offset0:127 offset1:144
	v_add_u32_e32 v1, s0, v1
	v_add_co_u32_e32 v5, vcc, v8, v5
	v_lshlrev_b64 v[0:1], 2, v[1:2]
	v_addc_co_u32_e32 v6, vcc, v7, v6, vcc
	v_add_co_u32_e32 v0, vcc, v8, v0
	v_addc_co_u32_e32 v1, vcc, v7, v1, vcc
	s_waitcnt lgkmcnt(0)
	global_store_dword v[5:6], v3, off
	global_store_dword v[0:1], v4, off
	s_endpgm
	.section	.rodata,"a",@progbits
	.p2align	6, 0x0
	.amdhsa_kernel fft_rtc_fwd_len289_factors_17_17_wgs_119_tpt_17_half_op_CI_CI_sbrc_aligned
		.amdhsa_group_segment_fixed_size 0
		.amdhsa_private_segment_fixed_size 0
		.amdhsa_kernarg_size 104
		.amdhsa_user_sgpr_count 6
		.amdhsa_user_sgpr_private_segment_buffer 1
		.amdhsa_user_sgpr_dispatch_ptr 0
		.amdhsa_user_sgpr_queue_ptr 0
		.amdhsa_user_sgpr_kernarg_segment_ptr 1
		.amdhsa_user_sgpr_dispatch_id 0
		.amdhsa_user_sgpr_flat_scratch_init 0
		.amdhsa_user_sgpr_private_segment_size 0
		.amdhsa_uses_dynamic_stack 0
		.amdhsa_system_sgpr_private_segment_wavefront_offset 0
		.amdhsa_system_sgpr_workgroup_id_x 1
		.amdhsa_system_sgpr_workgroup_id_y 0
		.amdhsa_system_sgpr_workgroup_id_z 0
		.amdhsa_system_sgpr_workgroup_info 0
		.amdhsa_system_vgpr_workitem_id 0
		.amdhsa_next_free_vgpr 143
		.amdhsa_next_free_sgpr 44
		.amdhsa_reserve_vcc 1
		.amdhsa_reserve_flat_scratch 0
		.amdhsa_float_round_mode_32 0
		.amdhsa_float_round_mode_16_64 0
		.amdhsa_float_denorm_mode_32 3
		.amdhsa_float_denorm_mode_16_64 3
		.amdhsa_dx10_clamp 1
		.amdhsa_ieee_mode 1
		.amdhsa_fp16_overflow 0
		.amdhsa_exception_fp_ieee_invalid_op 0
		.amdhsa_exception_fp_denorm_src 0
		.amdhsa_exception_fp_ieee_div_zero 0
		.amdhsa_exception_fp_ieee_overflow 0
		.amdhsa_exception_fp_ieee_underflow 0
		.amdhsa_exception_fp_ieee_inexact 0
		.amdhsa_exception_int_div_zero 0
	.end_amdhsa_kernel
	.text
.Lfunc_end0:
	.size	fft_rtc_fwd_len289_factors_17_17_wgs_119_tpt_17_half_op_CI_CI_sbrc_aligned, .Lfunc_end0-fft_rtc_fwd_len289_factors_17_17_wgs_119_tpt_17_half_op_CI_CI_sbrc_aligned
                                        ; -- End function
	.section	.AMDGPU.csdata,"",@progbits
; Kernel info:
; codeLenInByte = 14352
; NumSgprs: 48
; NumVgprs: 143
; ScratchSize: 0
; MemoryBound: 0
; FloatMode: 240
; IeeeMode: 1
; LDSByteSize: 0 bytes/workgroup (compile time only)
; SGPRBlocks: 5
; VGPRBlocks: 35
; NumSGPRsForWavesPerEU: 48
; NumVGPRsForWavesPerEU: 143
; Occupancy: 1
; WaveLimiterHint : 1
; COMPUTE_PGM_RSRC2:SCRATCH_EN: 0
; COMPUTE_PGM_RSRC2:USER_SGPR: 6
; COMPUTE_PGM_RSRC2:TRAP_HANDLER: 0
; COMPUTE_PGM_RSRC2:TGID_X_EN: 1
; COMPUTE_PGM_RSRC2:TGID_Y_EN: 0
; COMPUTE_PGM_RSRC2:TGID_Z_EN: 0
; COMPUTE_PGM_RSRC2:TIDIG_COMP_CNT: 0
	.type	__hip_cuid_86f8ea2da234625,@object ; @__hip_cuid_86f8ea2da234625
	.section	.bss,"aw",@nobits
	.globl	__hip_cuid_86f8ea2da234625
__hip_cuid_86f8ea2da234625:
	.byte	0                               ; 0x0
	.size	__hip_cuid_86f8ea2da234625, 1

	.ident	"AMD clang version 19.0.0git (https://github.com/RadeonOpenCompute/llvm-project roc-6.4.0 25133 c7fe45cf4b819c5991fe208aaa96edf142730f1d)"
	.section	".note.GNU-stack","",@progbits
	.addrsig
	.addrsig_sym __hip_cuid_86f8ea2da234625
	.amdgpu_metadata
---
amdhsa.kernels:
  - .args:
      - .actual_access:  read_only
        .address_space:  global
        .offset:         0
        .size:           8
        .value_kind:     global_buffer
      - .offset:         8
        .size:           8
        .value_kind:     by_value
      - .actual_access:  read_only
        .address_space:  global
        .offset:         16
        .size:           8
        .value_kind:     global_buffer
      - .actual_access:  read_only
        .address_space:  global
        .offset:         24
        .size:           8
        .value_kind:     global_buffer
      - .actual_access:  read_only
        .address_space:  global
        .offset:         32
        .size:           8
        .value_kind:     global_buffer
      - .offset:         40
        .size:           8
        .value_kind:     by_value
      - .actual_access:  read_only
        .address_space:  global
        .offset:         48
        .size:           8
        .value_kind:     global_buffer
      - .actual_access:  read_only
        .address_space:  global
        .offset:         56
        .size:           8
        .value_kind:     global_buffer
      - .offset:         64
        .size:           4
        .value_kind:     by_value
      - .actual_access:  read_only
        .address_space:  global
        .offset:         72
        .size:           8
        .value_kind:     global_buffer
      - .actual_access:  read_only
        .address_space:  global
        .offset:         80
        .size:           8
        .value_kind:     global_buffer
      - .actual_access:  read_only
        .address_space:  global
        .offset:         88
        .size:           8
        .value_kind:     global_buffer
      - .actual_access:  write_only
        .address_space:  global
        .offset:         96
        .size:           8
        .value_kind:     global_buffer
    .group_segment_fixed_size: 0
    .kernarg_segment_align: 8
    .kernarg_segment_size: 104
    .language:       OpenCL C
    .language_version:
      - 2
      - 0
    .max_flat_workgroup_size: 119
    .name:           fft_rtc_fwd_len289_factors_17_17_wgs_119_tpt_17_half_op_CI_CI_sbrc_aligned
    .private_segment_fixed_size: 0
    .sgpr_count:     48
    .sgpr_spill_count: 0
    .symbol:         fft_rtc_fwd_len289_factors_17_17_wgs_119_tpt_17_half_op_CI_CI_sbrc_aligned.kd
    .uniform_work_group_size: 1
    .uses_dynamic_stack: false
    .vgpr_count:     143
    .vgpr_spill_count: 0
    .wavefront_size: 64
amdhsa.target:   amdgcn-amd-amdhsa--gfx906
amdhsa.version:
  - 1
  - 2
...

	.end_amdgpu_metadata
